;; amdgpu-corpus repo=ROCm/hipBLASLt kind=harvested arch=n/a opt=n/a

/******************************************/
/* Begin Kernel                           */
/******************************************/
.amdgcn_target "amdgcn-amd-amdhsa--gfx942"
.text
.protected Custom_Cijk_Ailk_Bljk_F8NH_HSS_BH_Bias_GG_AS_SAB_SAV_UserArgs_shortname10_gfx942
.globl Custom_Cijk_Ailk_Bljk_F8NH_HSS_BH_Bias_GG_AS_SAB_SAV_UserArgs_shortname10_gfx942
.p2align 8
.type Custom_Cijk_Ailk_Bljk_F8NH_HSS_BH_Bias_GG_AS_SAB_SAV_UserArgs_shortname10_gfx942,@function
.section .rodata,#alloc
.p2align 6
.amdhsa_kernel Custom_Cijk_Ailk_Bljk_F8NH_HSS_BH_Bias_GG_AS_SAB_SAV_UserArgs_shortname10_gfx942
  .amdhsa_user_sgpr_kernarg_segment_ptr 1
  .amdhsa_accum_offset 256 // accvgpr offset
  .amdhsa_next_free_vgpr 512 // vgprs
  .amdhsa_next_free_sgpr 102 // sgprs
  .amdhsa_group_segment_fixed_size 65536 // lds bytes
  .amdhsa_private_segment_fixed_size 0
  .amdhsa_system_sgpr_workgroup_id_x 1
  .amdhsa_system_sgpr_workgroup_id_y 1
  .amdhsa_system_sgpr_workgroup_id_z 1
  .amdhsa_system_vgpr_workitem_id 0
  .amdhsa_float_denorm_mode_32 3
  .amdhsa_float_denorm_mode_16_64 3
  .amdhsa_user_sgpr_count 13
  .amdhsa_user_sgpr_kernarg_preload_length 11
  .amdhsa_user_sgpr_kernarg_preload_offset 0
.end_amdhsa_kernel
.text
/* Num VGPR   =256 */
/* Num AccVGPR=256 */
/* Num SGPR   =81 */

/******************************************/
/* Optimizations and Config:              */
/******************************************/
/* ThreadTile= 16 x 16 */
/* SubGroup= 16 x 16 */
/* VectorWidthA=4 */
/* VectorWidthB=1 */
/* GlobalReadVectorWidthA=4, GlobalReadVectorWidthB=4 */
/* DirectToLdsA=False */
/* DirectToLdsB=False */
/* UseSgprForGRO=False */
.amdgpu_metadata
---
custom.config:
   ProblemType:
      OperationType: GEMM
      DataTypeA: f8n
      DataTypeB: h
      UseScaleAB: "Scalar"
      DataType: h
      DestDataType: s
      ComputeDataType: s
      HighPrecisionAccumulate: True
      TransposeA: False
      TransposeB: False
      UseBias: 1
      Activation: True
      UseScaleAlphaVec: 1
      UseBeta: True
      Batched: True
      GroupedGemm:   True
      SupportUserArgs: True
   EnableF32XdlMathOp: False
   EnableMatrixInstruction: True
   MFMA_BF16_1K: False
   MIBlock: [16, 16, 16, 1, 1, 1]
   MIInputPerThread: 4
   MIInputPerThreadA: 4
   MIInputPerThreadB: 4
   MIInputPerThreadMetadata: 4
   MIWaveGroup: [4, 1]
   MIWaveTile: [4, 16]
   MatrixInstB: 1
   MatrixInstBM: 1
   MatrixInstBN: 1
   MatrixInstK: 16
   MatrixInstM: 16
   MatrixInstN: 16
   MatrixInstruction: [16, 16, 16, 1]
   Sparse: 0
   ThreadTile: [1, 1]
   WavefrontSize: 64
   WorkGroup: [64, 4, 1]
   1LDSBuffer: 1
   ScheduleIterAlg: 3
   DepthU: 32
   StaggerU: 0
   WorkGroupMapping: 8
   WaveSeparateGlobalReadA: 1
   WaveSeparateGlobalReadB: 1
   GlobalReadVectorWidthA: 4
   GlobalReadVectorWidthB: 4
   AssertFree0ElementMultiple: 1
   AssertSummationElementMultiple: 1
   NoReject: 1
   InternalSupportParams:
      KernArgsVersion: 0
      SupportUserGSU: False
      SupportCustomWGM: False
      SupportCustomStaggerU: False
      UseUniversalArgs: False
amdhsa.version:
  - 1
  - 1
amdhsa.kernels:
  - .name: Custom_Cijk_Ailk_Bljk_F8NH_HSS_BH_Bias_GG_AS_SAB_SAV_UserArgs_shortname10_gfx942
    .symbol: 'Custom_Cijk_Ailk_Bljk_F8NH_HSS_BH_Bias_GG_AS_SAB_SAV_UserArgs_shortname10_gfx942.kd'
    .language:                   OpenCL C
    .language_version:
      - 2
      - 0
    .args:
      - .name:            SizesFree0
        .size:            4
        .offset:          0
        .value_kind:      by_value
        .value_type:      u32
      - .name:            SizesFree1
        .size:            4
        .offset:          4
        .value_kind:      by_value
        .value_type:      u32
      - .name:            SizesFree2
        .size:            4
        .offset:          8
        .value_kind:      by_value
        .value_type:      u32
      - .name:            SizesSum0
        .size:            4
        .offset:          12
        .value_kind:      by_value
        .value_type:      u32
      - .name:            D
        .size:            8
        .offset:          16
        .value_kind:      global_buffer
        .value_type:      f32
        .address_space:   generic
      - .name:            C
        .size:            8
        .offset:          24
        .value_kind:      global_buffer
        .value_type:      f32
        .address_space:   generic
      - .name:            A
        .size:            8
        .offset:          32
        .value_kind:      global_buffer
        .value_type:      f16
        .address_space:   generic
      - .name:            B
        .size:            8
        .offset:          40
        .value_kind:      global_buffer
        .value_type:      f16
        .address_space:   generic
      - .name:            strideD0
        .size:            4
        .offset:          48
        .value_kind:      by_value
        .value_type:      u32
      - .name:            strideD1
        .size:            4
        .offset:          52
        .value_kind:      by_value
        .value_type:      u32
      - .name:            strideC0
        .size:            4
        .offset:          56
        .value_kind:      by_value
        .value_type:      u32
      - .name:            strideC1
        .size:            4
        .offset:          60
        .value_kind:      by_value
        .value_type:      u32
      - .name:            strideA0
        .size:            4
        .offset:          64
        .value_kind:      by_value
        .value_type:      u32
      - .name:            strideA1
        .size:            4
        .offset:          68
        .value_kind:      by_value
        .value_type:      u32
      - .name:            strideB0
        .size:            4
        .offset:          72
        .value_kind:      by_value
        .value_type:      u32
      - .name:            strideB1
        .size:            4
        .offset:          76
        .value_kind:      by_value
        .value_type:      u32
      - .name:            alpha
        .size:            4
        .offset:          80
        .value_kind:      by_value
        .value_type:      f32
      - .name:            beta
        .size:            4
        .offset:          84
        .value_kind:      by_value
        .value_type:      f32
      - .name:            AddressScaleA
        .size:            8
        .offset:          88
        .value_kind:      global_buffer
        .value_type:      f32
        .address_space:   generic
      - .name:            AddressScaleB
        .size:            8
        .offset:          96
        .value_kind:      global_buffer
        .value_type:      f32
        .address_space:   generic
      - .name:            AddressScaleAlphaVec
        .size:            8
        .offset:          104
        .value_kind:      global_buffer
        .value_type:      f32
        .address_space:   generic
      - .name:            bias
        .size:            8
        .offset:          112
        .value_kind:      global_buffer
        .value_type:      void
        .address_space:   generic
      - .name:            biasType
        .size:            4
        .offset:          120
        .value_kind:      by_value
        .value_type:      u32
      - .name:            StrideBias
        .size:            4
        .offset:          124
        .value_kind:      by_value
        .value_type:      u32
      - .name:            activationAlpha
        .size:            4
        .offset:          128
        .value_kind:      by_value
        .value_type:      f32
      - .name:            activationBeta
        .size:            4
        .offset:          132
        .value_kind:      by_value
        .value_type:      f32
      - .name:            activationType
        .size:            4
        .offset:          136
        .value_kind:      by_value
        .value_type:      u32
    .group_segment_fixed_size:   33792
    .kernarg_segment_align:      8
    .kernarg_segment_size:       144
    .max_flat_workgroup_size:    256
    .private_segment_fixed_size: 0
    .sgpr_count:                 81
    .sgpr_spill_count:           0
    .vgpr_count:                 256
    .vgpr_spill_count:           0
    .wavefront_size:             64
...
.end_amdgpu_metadata
Custom_Cijk_Ailk_Bljk_F8NH_HSS_BH_Bias_GG_AS_SAB_SAV_UserArgs_shortname10_gfx942:
.long 0xC00206C0, 0x00000000
.long 0xC0020B80, 0x00000018
.long 0xC0060180, 0x00000004
.long 0xC0060000, 0x0000000C
.long 0xBF8CC07F
.long 0xBF82003D
	;; [unrolled: 1-line block ×63, first 2 shown]
.long 0xBEBC00FF, 0x05040100
.long 0xBEBD00FF, 0x07060302
	;; [unrolled: 1-line block ×3, first 2 shown]
.long 0x7EF60300
.long 0xBE82000D
	;; [unrolled: 1-line block ×6, first 2 shown]
.long 0xBE9A00FF, 0x0000008C
.long 0x9216841B
.long 0xBE900100
.long 0xBF820004
.long 0xBE9A00FF, 0x000000C4
.long 0xBE960080
.long 0xBE900106
.long 0xBE980081
.long 0xBE970080
.long 0xC0080308, 0x00000016
.long 0xB41B0001
	;; [unrolled: 5-line block ×3, first 2 shown]
.long 0x8F15880D
.long 0x86120DFF, 0x000000FF
.long 0x82158015
.long 0x92141514
	;; [unrolled: 1-line block ×8, first 2 shown]
.long 0xC0080308, 0x00000016
.long 0x80188118
.long 0xBF0A1B18
	;; [unrolled: 1-line block ×5, first 2 shown]
.long 0x86120CFF, 0x000000FF
.long 0x82148014
.long 0x8F15880D
.long 0x86120DFF, 0x000000FF
.long 0x82158015
.long 0x92141514
	;; [unrolled: 1-line block ×12, first 2 shown]
.long 0x920BFF0B, 0x0000008C
.long 0x80000B00
.long 0x82018001
.long 0xC0120600, 0x00000000
.long 0xC00A0A00, 0x00000040
	;; [unrolled: 1-line block ×3, first 2 shown]
.long 0xBF82000C
.long 0x920BFF0B, 0x000000C4
.long 0x80060B06
.long 0x82078007
.long 0xC0120603, 0x00000000
.long 0xC00A0A03, 0x00000040
	;; [unrolled: 1-line block ×4, first 2 shown]
.long 0x2602F6BF
.long 0x2600028F
	;; [unrolled: 1-line block ×27, first 2 shown]
.long 0xBE8F00FF, 0x00000100
.long 0xD2850000, 0x0002000F
	;; [unrolled: 1-line block ×3, first 2 shown]
.long 0x2004F487
.long 0x24040483
	;; [unrolled: 1-line block ×3, first 2 shown]
.long 0x32F4F4FF, 0x00004000
.long 0x2608F6BF
.long 0x20020886
	;; [unrolled: 1-line block ×18, first 2 shown]
.long 0x10A008FF, 0x00000100
.long 0xD1FE0050, 0x0206A100
.long 0x10A204A0
.long 0xD1FE0051, 0x0206A305
.long 0x200CA287
.long 0x240C0C83
	;; [unrolled: 1-line block ×3, first 2 shown]
.long 0x32A2A2FF, 0x00004000
.long 0xBF8CC07F
.long 0x7E1002FF, 0x00000100
.long 0x7E0E0218
.long 0x7E0C0D08
	;; [unrolled: 1-line block ×8, first 2 shown]
.long 0xD0CD006A, 0x00010109
.long 0xD11C6A06, 0x01A90106
.long 0x7E1002FF, 0x00000100
.long 0x7E0E0219
.long 0x7E1A0506
	;; [unrolled: 1-line block ×9, first 2 shown]
.long 0xD0CD006A, 0x00010109
.long 0xD11C6A06, 0x01A90106
.long 0xBF800000
.long 0x7E1C0506
	;; [unrolled: 1-line block ×12, first 2 shown]
.long 0xD1080007, 0x00007D06
.long 0x6A0E0E02
.long 0xD0DA007E, 0x00007D07
.long 0x680C0C81
.long 0xBEFE01C1
.long 0x7E7C0506
.long 0xBE84003E
.long 0x923E0D0E
.long 0x923E043E
.long 0x923E2E3E
.long 0x80823E02
.long 0x7E0C0C0D
.long 0x7E0C4706
.long 0x7E0E0C02
.long 0x0A0C0F06
.long 0x7E0C0F06
.long 0xD1080007, 0x00001B06
.long 0x6A0E0E02
.long 0xD0DA007E, 0x00001B07
.long 0x680C0C81
.long 0xBEFE01C1
.long 0x7E7C0506
.long 0xBE83003E
.long 0x923E0D03
.long 0x80823E02
.long 0xBF091A04
.long 0xBF840001
.long 0xBF810000
.long 0x80A08420
.long 0x82A18021
.long 0x80A28822
.long 0x82A38023
.long 0xD042006A, 0x0001002C
.long 0xBF860001
.long 0xBE9B0080
	;; [unrolled: 1-line block ×9, first 2 shown]
.long 0xD1080007, 0x00005D06
.long 0x6A0E0E03
.long 0xD0DA007E, 0x00005D07
.long 0x680C0C81
.long 0x7E0E0280
.long 0xBEFE01C1
.long 0x7E060506
.long 0x7E100507
.long 0xBE850082
.long 0xBE8A0082
.long 0xBF820003
.long 0xBE880180
.long 0xBE850082
.long 0xBE8A0082
.long 0xBEC200FF, 0x10000001
.long 0x963F4203
.long 0x923E4203
	;; [unrolled: 1-line block ×21, first 2 shown]
.long 0xD1080007, 0x00008106
.long 0x6A0E0E3F
.long 0xD0DA007E, 0x00008107
.long 0x680C0C81
.long 0x7E0E0280
.long 0xBEFE01C1
.long 0x7E040506
.long 0x7E060507
.long 0x923E883E
.long 0x80033E03
.long 0x7E0E0302
.long 0x32100E88
.long 0x32121088
.long 0x32141288
.long 0x32161488
.long 0x32181688
.long 0x321A1888
.long 0x321C1A88
.long 0x7E2E0303
.long 0x923EFF02, 0x00000100
.long 0x80BE3E18
.long 0x80BE843E
	;; [unrolled: 1-line block ×13, first 2 shown]
.long 0xD285000F, 0x00021E84
.long 0xD285000F, 0x00021E28
.long 0x6800010F
.long 0x201EF686
	;; [unrolled: 1-line block ×5, first 2 shown]
.long 0xD2850052, 0x00010028
.long 0xD2850053, 0x00010228
	;; [unrolled: 1-line block ×16, first 2 shown]
.long 0x68A4A484
.long 0x68A6A684
	;; [unrolled: 1-line block ×8, first 2 shown]
.long 0xD285000F, 0x00020E2A
.long 0x32B41F17
.long 0x68B4B484
.long 0x24B4B481
.long 0xD285000F, 0x0002102A
.long 0x32B61F17
.long 0x68B6B684
.long 0x24B6B681
	;; [unrolled: 4-line block ×8, first 2 shown]
.long 0x9641FF02, 0x00000100
.long 0x9240FF02, 0x00000100
.long 0x963F08A0
.long 0x923E08A0
	;; [unrolled: 1-line block ×30, first 2 shown]
.long 0xBEB300FF, 0x00020000
.long 0x9641FF03, 0x00000100
	;; [unrolled: 1-line block ×3, first 2 shown]
.long 0x96412A40
.long 0x92402A40
	;; [unrolled: 1-line block ×32, first 2 shown]
.long 0xBEB700FF, 0x00020000
.long 0x923EA02E
.long 0x920F283E
	;; [unrolled: 1-line block ×12, first 2 shown]
.long 0xD1080001, 0x00005D00
.long 0x6A02020B
.long 0xD0DA007E, 0x00005D01
.long 0x68000081
.long 0x7E020280
	;; [unrolled: 1-line block ×11, first 2 shown]
.long 0xE0501000, 0x800C6252
.long 0xE0501000, 0x800C6353
	;; [unrolled: 1-line block ×16, first 2 shown]
.long 0x80300F30
.long 0x82318031
	;; [unrolled: 1-line block ×14, first 2 shown]
.long 0xBE9200FF, 0x80000000
.long 0xBE9300FF, 0x00020000
.long 0xBE94001E
.long 0xBE95001F
.long 0xBE9600FF, 0x80000000
.long 0xBE9700FF, 0x00020000
	;; [unrolled: 1-line block ×3, first 2 shown]
.long 0x963F2640
.long 0x923E2640
.long 0x8EBE053E
.long 0x80143E1E
.long 0x82153F1F
.long 0x963F2440
.long 0x923E2440
.long 0x8EBE0A3E
.long 0x80103E1C
.long 0x82113F1D
.long 0x963F2704
.long 0x923E2704
.long 0x8EBE053E
.long 0x80143E14
.long 0x82153F15
.long 0x963F2504
.long 0x923E2504
.long 0x8EBE0A3E
.long 0x80103E10
.long 0x82113F11
.long 0xBF06812E
.long 0xBF850011
.long 0x963F0818
.long 0x923E0818
.long 0x80C28119
.long 0x92420842
.long 0x96412642
.long 0x92402642
.long 0x803E403E
.long 0x823F413F
.long 0x80C2811A
.long 0x92420842
.long 0x96412742
.long 0x92402742
.long 0x803E403E
.long 0x823F413F
.long 0x8EBE823E
.long 0x80103E10
.long 0x82113F11
.long 0xD3D94000, 0x18000080
.long 0xD3D94001, 0x18000080
	;; [unrolled: 1-line block ×256, first 2 shown]
.long 0xBF06800B
.long 0xBF840006
	;; [unrolled: 1-line block ×3, first 2 shown]
.long 0x814084FF, 0x000016F8
.long 0x803E403E
.long 0x823F803F
	;; [unrolled: 1-line block ×12, first 2 shown]
.long 0xD89A0000, 0x00006A51
.long 0xD89A0220, 0x00006C51
	;; [unrolled: 1-line block ×8, first 2 shown]
.long 0xBF06810B
.long 0xBF850020
.long 0xE0501000, 0x800C6252
.long 0xE0501000, 0x800C6353
	;; [unrolled: 1-line block ×16, first 2 shown]
.long 0xBF8CC07F
.long 0xBF8A0000
.long 0x7F08ACF9, 0x0004067C
.long 0x7E0014F9, 0x00061484
	;; [unrolled: 1-line block ×40, first 2 shown]
.long 0xBF06810B
.long 0xBF8503D7
	;; [unrolled: 1-line block ×5, first 2 shown]
.long 0xD3CD8000, 0x04020110
.long 0xD8EC0020, 0x3000007A
.long 0x80300F30
.long 0xD3CD8004, 0x04120510
.long 0xD8EC0460, 0x3200007A
.long 0x82318031
	;; [unrolled: 3-line block ×12, first 2 shown]
.long 0xD3CD8030, 0x04C20116
.long 0xD8EC3320, 0x4800007A
	;; [unrolled: 1-line block ×41, first 2 shown]
.long 0xBF8CC07F
.long 0xBF8A0000
.long 0xD3CD8064, 0x0592051C
.long 0xBF8C0F7F
.long 0x7EF80362
.long 0xD3CD8068, 0x05A2091C
.long 0xE0501000, 0x800C6252
.long 0xD3CD806C, 0x05B20D1C
.long 0xD3CD8070, 0x05C2011E
.long 0xD3CD8074, 0x05D2051E
.long 0xBF8C0F7F
.long 0x7EFA0363
.long 0xD3CD8078, 0x05E2091E
.long 0xE0501000, 0x800C6353
.long 0xD3CD807C, 0x05F20D1E
.long 0xD3CD8080, 0x06020120
.long 0xD3CD8084, 0x06120520
.long 0xD3CD8088, 0x06220920
.long 0xBF8C0F7F
.long 0x7EFC0364
.long 0xD3CD808C, 0x06320D20
	;; [unrolled: 8-line block ×4, first 2 shown]
.long 0xE0501000, 0x800C6656
.long 0xD3CD80B8, 0x06E20926
.long 0xD3CD80BC, 0x06F20D26
.long 0xD3CD80C0, 0x07020128
.long 0xBF8C0F7F
.long 0x7F020367
.long 0xD3CD80C4, 0x07120528
.long 0xE0501000, 0x800C6757
.long 0xD3CD80C8, 0x07220928
.long 0xD3CD80CC, 0x07320D28
.long 0xD3CD80D0, 0x0742012A
.long 0xD3CD80D4, 0x0752052A
.long 0xBF8C0F7F
.long 0x7F040368
.long 0xD3CD80D8, 0x0762092A
.long 0xE0501000, 0x800C6858
	;; [unrolled: 8-line block ×3, first 2 shown]
.long 0xD3CD80F0, 0x07C2012E
.long 0xD3CD80F4, 0x07D2052E
	;; [unrolled: 1-line block ×4, first 2 shown]
.long 0xBF8C0F7F
.long 0xD89A0000, 0x00006A51
.long 0xD3CD8000, 0x04021130
.long 0xE0541000, 0x800D6A5A
.long 0xD3CD8004, 0x04121530
.long 0xD3CD8008, 0x04221930
.long 0xD3CD800C, 0x04321D30
.long 0xBF8C0F7F
.long 0xD89A0220, 0x00006C51
.long 0xD3CD8010, 0x04421132
.long 0xE0541000, 0x800D6C5B
.long 0xD3CD8014, 0x04521532
.long 0xD3CD8018, 0x04621932
.long 0xD3CD801C, 0x04721D32
.long 0xD3CD8020, 0x04821134
.long 0xBF8C0F7F
.long 0xD89A0440, 0x00006E51
	;; [unrolled: 8-line block ×4, first 2 shown]
.long 0xD3CD804C, 0x05321D38
.long 0xE0541000, 0x800D725E
.long 0xD3CD8050, 0x0542113A
.long 0xD3CD8054, 0x0552153A
.long 0xD3CD8058, 0x0562193A
.long 0xBF8C0F7F
.long 0xD89A0AA0, 0x00007451
.long 0xD3CD805C, 0x05721D3A
.long 0xE0541000, 0x800D745F
.long 0xD3CD8060, 0x0582113C
.long 0xD3CD8064, 0x0592153C
.long 0xD3CD8068, 0x05A2193C
.long 0xD3CD806C, 0x05B21D3C
.long 0xBF8C0F7F
.long 0xD89A0CC0, 0x00007651
.long 0xD3CD8070, 0x05C2113E
.long 0xE0541000, 0x800D7660
.long 0xD3CD8074, 0x05D2153E
.long 0xD3CD8078, 0x05E2193E
.long 0xD3CD807C, 0x05F21D3E
.long 0xD3CD8080, 0x06021140
.long 0xBF8C0F7F
.long 0xD89A0EE0, 0x00007851
.long 0xD3CD8084, 0x06121540
.long 0xE0541000, 0x800D7861
.long 0xD3CD8088, 0x06221940
	;; [unrolled: 1-line block ×6, first 2 shown]
.long 0xBF8CC07F
.long 0xBF8A0000
.long 0xD3CD809C, 0x06721D42
.long 0xD8EC0000, 0x1000007A
	;; [unrolled: 1-line block ×65, first 2 shown]
.long 0x808B810B
.long 0xBF00820B
	;; [unrolled: 1-line block ×4, first 2 shown]
.long 0xD3CD8000, 0x04020110
.long 0xD8EC0020, 0x3000007A
.long 0x80300F30
.long 0xD3CD8004, 0x04120510
.long 0xD8EC0460, 0x3200007A
.long 0x82318031
	;; [unrolled: 3-line block ×12, first 2 shown]
.long 0xD3CD8030, 0x04C20116
.long 0xD8EC3320, 0x4800007A
	;; [unrolled: 1-line block ×42, first 2 shown]
.long 0xBF8CC07F
.long 0xBF8A0000
.long 0xD3CD8068, 0x05A2091C
.long 0xBF8C0F7F
.long 0x7EF80362
.long 0xD3CD806C, 0x05B20D1C
.long 0xD3CD8070, 0x05C2011E
.long 0xD3CD8074, 0x05D2051E
.long 0xBF8C0F7E
.long 0x7EFA0363
.long 0xD3CD8078, 0x05E2091E
.long 0xD3CD807C, 0x05F20D1E
.long 0xD3CD8080, 0x06020120
.long 0xD3CD8084, 0x06120520
.long 0xD3CD8088, 0x06220920
.long 0xBF8C0F7D
.long 0x7EFC0364
.long 0xD3CD808C, 0x06320D20
.long 0xD3CD8090, 0x06420122
	;; [unrolled: 7-line block ×4, first 2 shown]
.long 0xD3CD80BC, 0x06F20D26
.long 0xD3CD80C0, 0x07020128
.long 0xBF8C0F7A
.long 0x7F020367
.long 0xD3CD80C4, 0x07120528
.long 0xD3CD80C8, 0x07220928
.long 0xD3CD80CC, 0x07320D28
.long 0xD3CD80D0, 0x0742012A
.long 0xD3CD80D4, 0x0752052A
.long 0xBF8C0F79
.long 0x7F040368
.long 0xD3CD80D8, 0x0762092A
.long 0xD3CD80DC, 0x07720D2A
.long 0xD3CD80E0, 0x0782012C
	;; [unrolled: 7-line block ×3, first 2 shown]
.long 0xD3CD80F8, 0x07E2092E
.long 0xD3CD80FC, 0x07F20D2E
.long 0xBF8C0F77
.long 0xD89A0000, 0x00006A51
.long 0xD3CD8000, 0x04021130
.long 0xD3CD8004, 0x04121530
.long 0xD3CD8008, 0x04221930
.long 0xD3CD800C, 0x04321D30
.long 0xBF8C0F76
.long 0xD89A0220, 0x00006C51
.long 0xD3CD8010, 0x04421132
.long 0xD3CD8014, 0x04521532
.long 0xD3CD8018, 0x04621932
.long 0xD3CD801C, 0x04721D32
.long 0xD3CD8020, 0x04821134
.long 0xBF8C0F75
.long 0xD89A0440, 0x00006E51
	;; [unrolled: 7-line block ×4, first 2 shown]
.long 0xD3CD804C, 0x05321D38
.long 0xD3CD8050, 0x0542113A
.long 0xD3CD8054, 0x0552153A
.long 0xD3CD8058, 0x0562193A
.long 0xBF8C0F72
.long 0xD89A0AA0, 0x00007451
.long 0xD3CD805C, 0x05721D3A
.long 0xD3CD8060, 0x0582113C
.long 0xD3CD8064, 0x0592153C
.long 0xD3CD8068, 0x05A2193C
.long 0xD3CD806C, 0x05B21D3C
.long 0xBF8C0F71
.long 0xD89A0CC0, 0x00007651
.long 0xD3CD8070, 0x05C2113E
	;; [unrolled: 7-line block ×3, first 2 shown]
.long 0xD3CD8088, 0x06221940
.long 0xD3CD808C, 0x06321D40
	;; [unrolled: 1-line block ×5, first 2 shown]
.long 0xBF8CC07F
.long 0xBF8A0000
.long 0xD3CD809C, 0x06721D42
.long 0xD8EC0000, 0x1000007A
	;; [unrolled: 1-line block ×65, first 2 shown]
.long 0xBF06812E
.long 0xBF840000
	;; [unrolled: 1-line block ×3, first 2 shown]
.long 0xD3CD8000, 0x04020110
.long 0xD8EC0020, 0x3000007A
	;; [unrolled: 1-line block ×104, first 2 shown]
.long 0xBF8CC07F
.long 0xD3CD8000, 0x04021130
.long 0xD3CD8004, 0x04121530
	;; [unrolled: 1-line block ×64, first 2 shown]
.long 0x860B1B9F
.long 0xBF070908
.long 0xBE8B0280
.long 0xBF06800B
.long 0xBE8C0080
.long 0xBF8502AB
.long 0xE0801000, 0x800C6252
.long 0xE0801001, 0x800C0052
.long 0xE0841002, 0x800C0152
.long 0xE0841003, 0x800C0252
.long 0xBF8C0F72
.long 0x24000088
.long 0x28C40162
.long 0xBF8C0F71
.long 0x28C40362
.long 0xBF8C0F70
.long 0x24040488
.long 0x28C40562
.long 0xE0801000, 0x800C6353
.long 0xE0801001, 0x800C0053
.long 0xE0841002, 0x800C0153
.long 0xE0841003, 0x800C0253
.long 0xBF8C0F72
.long 0x24000088
	;; [unrolled: 12-line block ×8, first 2 shown]
.long 0x28D20169
.long 0xBF8C0F71
	;; [unrolled: 1-line block ×6, first 2 shown]
.long 0xE0901000, 0x800D6A5A
.long 0xE0941002, 0x800D005A
.long 0xBF8C0F70
.long 0x28D4016A
.long 0xE0901004, 0x800D6B5A
.long 0xE0941006, 0x800D005A
.long 0xBF8C0F70
.long 0x28D6016B
	;; [unrolled: 4-line block ×16, first 2 shown]
.long 0xBF8C0F70
.long 0xBF8A0000
.long 0x7EF80362
.long 0x7EFA0363
.long 0x7EFC0364
.long 0x7EFE0365
.long 0x7F000366
.long 0x7F020367
.long 0x7F040368
.long 0x7F060369
.long 0xD89A0000, 0x00006A51
.long 0xD89A0220, 0x00006C51
	;; [unrolled: 1-line block ×8, first 2 shown]
.long 0xBF8CC07F
.long 0xBF8A0000
.long 0xD8EC0000, 0x1000007A
.long 0xD8EC0440, 0x1200007A
	;; [unrolled: 1-line block ×16, first 2 shown]
.long 0xBE8500A0
.long 0x32F4F405
	;; [unrolled: 1-line block ×3, first 2 shown]
.long 0x7F08ACF9, 0x0004067C
.long 0x7E0014F9, 0x00061484
	;; [unrolled: 1-line block ×24, first 2 shown]
.long 0x7EF80380
.long 0x7EFA0381
	;; [unrolled: 1-line block ×7, first 2 shown]
.long 0xD0C6003E, 0x00001758
.long 0xD1000000, 0x00F90100
	;; [unrolled: 1-line block ×41, first 2 shown]
.long 0x6AB0B00B
.long 0xD0C1003E, 0x00010958
.long 0x8640830B
.long 0x80C04084
	;; [unrolled: 1-line block ×3, first 2 shown]
.long 0xD28F005A, 0x00020040
.long 0xD1000000, 0x00FAB500
	;; [unrolled: 1-line block ×60, first 2 shown]
.long 0xBF800001
.long 0xD3CD8000, 0x04020110
.long 0xD3CD8004, 0x04120510
	;; [unrolled: 1-line block ×64, first 2 shown]
.long 0x818B900B
.long 0x800C900C
	;; [unrolled: 1-line block ×8, first 2 shown]
.long 0xC00E0C00, 0x00000058
.long 0xC00A0E00, 0x00000078
	;; [unrolled: 1-line block ×3, first 2 shown]
.long 0xBF82000A
.long 0xC00A0C03, 0x00000070
.long 0xC00A0D03, 0x00000090
	;; [unrolled: 1-line block ×5, first 2 shown]
.long 0x7E060202
.long 0x0C0606FF, 0xFFFFFF00
.long 0x32060618
.long 0x7E0802FF, 0x00000100
.long 0xD0C9003E, 0x00020903
	;; [unrolled: 1-line block ×3, first 2 shown]
.long 0x200AF686
.long 0x260A0A83
.long 0x200C0686
.long 0x260C0C83
.long 0xD0CA003E, 0x00020B06
.long 0xD1000003, 0x00FA0704
.long 0x20080686
.long 0x240C0A80
	;; [unrolled: 1-line block ×14, first 2 shown]
.long 0xD0CA006A, 0x00010307
.long 0xBF870007
.long 0xD0CA006A, 0x00010507
.long 0xBF870007
	;; [unrolled: 2-line block ×3, first 2 shown]
.long 0xBF8206EA
.long 0xD0CA006A, 0x00010104
.long 0xBF870006
.long 0xD0CA006A, 0x00010104
	;; [unrolled: 2-line block ×6, first 2 shown]
.long 0xBF870390
.long 0xBEBE0080
.long 0xD0DA003E, 0x00007D06
.long 0x2600F6BF
.long 0x24000082
.long 0xD3D84007, 0x1800010C
.long 0xBF800001
.long 0xD3D94000, 0x18000107
.long 0xD3D84007, 0x1800010D
.long 0xBF800001
.long 0xD3D94001, 0x18000107
	;; [unrolled: 3-line block ×64, first 2 shown]
.long 0xBEBE01C1
.long 0xBEEA213E
	;; [unrolled: 1-line block ×4, first 2 shown]
.long 0xD0DA003E, 0x00007D06
.long 0x2600F6BF
.long 0x24000082
.long 0xD3D84007, 0x18000108
.long 0xD3D84008, 0x1800010C
.long 0xBF800001
.long 0xD3D94000, 0x18000107
.long 0xD3D94004, 0x18000108
.long 0xD3D84007, 0x18000109
.long 0xD3D84008, 0x1800010D
.long 0xBF800001
.long 0xD3D94001, 0x18000107
.long 0xD3D94005, 0x18000108
	;; [unrolled: 5-line block ×64, first 2 shown]
.long 0xBEBE01C1
.long 0xBEEA213E
	;; [unrolled: 1-line block ×4, first 2 shown]
.long 0xD0DA003E, 0x00007D06
.long 0x2600F6BF
.long 0x24000082
.long 0xD3D84007, 0x18000104
.long 0xD3D84008, 0x18000108
.long 0xD3D84009, 0x1800010C
.long 0xBF800001
.long 0xD3D94000, 0x18000107
.long 0xD3D94004, 0x18000108
.long 0xD3D94008, 0x18000109
.long 0xD3D84007, 0x18000105
.long 0xD3D84008, 0x18000109
.long 0xD3D84009, 0x1800010D
.long 0xBF800001
.long 0xD3D94001, 0x18000107
.long 0xD3D94005, 0x18000108
.long 0xD3D94009, 0x18000109
	;; [unrolled: 7-line block ×64, first 2 shown]
.long 0xBEBE01C1
.long 0xBEEA213E
	;; [unrolled: 1-line block ×5, first 2 shown]
.long 0xD2850005, 0x00020A90
.long 0x2602F6BF
.long 0x20020284
	;; [unrolled: 1-line block ×3, first 2 shown]
.long 0xD1FE0001, 0x02020305
.long 0xD2850002, 0x00004D01
	;; [unrolled: 1-line block ×3, first 2 shown]
.long 0x26000883
.long 0xD2850000, 0x00020090
.long 0x260AF68F
.long 0xD1FE0000, 0x020A0105
.long 0x920502FF, 0x00000100
.long 0x68000005
.long 0x920503FF, 0x00000100
.long 0x68020205
.long 0xBF8CC07F
.long 0xBF06812E
.long 0xBF8513B5
.long 0x864818FF, 0x000000FF
.long 0x80490DC1
.long 0xBF094902
	;; [unrolled: 1-line block ×5, first 2 shown]
.long 0x864819FF, 0x000000FF
.long 0x80490EC1
.long 0xBF094903
.long 0x85488048
.long 0xB5480000
.long 0xBF850348
.long 0xD1FE0006, 0x020A0103
.long 0xD3D84008, 0x18000100
	;; [unrolled: 1-line block ×65, first 2 shown]
.long 0xBF800001
.long 0xE07C1000, 0x80040806
.long 0x8E3E8224
.long 0x80103E10
.long 0x82118011
.long 0xE07C1000, 0x80040C06
.long 0x8E3E8224
.long 0x80103E10
	;; [unrolled: 4-line block ×15, first 2 shown]
.long 0x82118011
.long 0xE07C1000, 0x80044406
.long 0xBF800000
.long 0xD3D84008, 0x18000140
.long 0xD3D84009, 0x18000144
	;; [unrolled: 1-line block ×64, first 2 shown]
.long 0xBF800001
.long 0x923EB424
	;; [unrolled: 1-line block ×4, first 2 shown]
.long 0xE07C1000, 0x80040806
.long 0x8E3E8224
.long 0x80103E10
.long 0x82118011
.long 0xE07C1000, 0x80040C06
.long 0x8E3E8224
.long 0x80103E10
.long 0x82118011
	;; [unrolled: 4-line block ×15, first 2 shown]
.long 0xE07C1000, 0x80044406
.long 0xBF800000
.long 0xD3D84008, 0x18000180
.long 0xD3D84009, 0x18000184
	;; [unrolled: 1-line block ×64, first 2 shown]
.long 0xBF800001
.long 0x923EB424
	;; [unrolled: 1-line block ×4, first 2 shown]
.long 0xE07C1000, 0x80040806
.long 0x8E3E8224
.long 0x80103E10
.long 0x82118011
.long 0xE07C1000, 0x80040C06
.long 0x8E3E8224
.long 0x80103E10
.long 0x82118011
	;; [unrolled: 4-line block ×15, first 2 shown]
.long 0xE07C1000, 0x80044406
.long 0xBF800000
.long 0xD3D84008, 0x180001C0
.long 0xD3D84009, 0x180001C4
	;; [unrolled: 1-line block ×64, first 2 shown]
.long 0xBF800001
.long 0x923EB424
	;; [unrolled: 1-line block ×4, first 2 shown]
.long 0xE07C1000, 0x80040806
.long 0x8E3E8224
.long 0x80103E10
.long 0x82118011
.long 0xE07C1000, 0x80040C06
.long 0x8E3E8224
.long 0x80103E10
.long 0x82118011
	;; [unrolled: 4-line block ×15, first 2 shown]
.long 0xE07C1000, 0x80044406
.long 0xBF800000
.long 0xBF821059
.long 0x7E4C02FF, 0x80000000
.long 0xD0C90048, 0x00003100
.long 0xD0C9004C, 0x00003301
.long 0x86CC4C48
.long 0xD1FE0006, 0x020A0103
.long 0xD1000006, 0x01320D26
.long 0xD1196A04, 0x00010300
.long 0xD0C90048, 0x00003104
.long 0xD0C9004C, 0x00003301
.long 0x86CC4C48
.long 0xD1FE0008, 0x020A0903
.long 0xD1000008, 0x01321126
.long 0xD1196A04, 0x00010500
.long 0xD0C90048, 0x00003104
.long 0xD0C9004C, 0x00003301
.long 0x86CC4C48
.long 0xD1FE000A, 0x020A0903
.long 0xD100000A, 0x01321526
.long 0xD1196A04, 0x00010700
.long 0xD0C90048, 0x00003104
.long 0xD0C9004C, 0x00003301
.long 0x86CC4C48
.long 0xD1FE000C, 0x020A0903
.long 0xD100000C, 0x01321926
.long 0xD1196A01, 0x00010301
.long 0xD1340002, 0x00004D02
.long 0xD1340003, 0x00004903
.long 0xD0C90048, 0x00003100
.long 0xD0C9004C, 0x00003301
.long 0x86CC4C48
.long 0xD1FE000E, 0x020A0103
.long 0xD100000E, 0x01321D26
.long 0xD1196A04, 0x00010300
.long 0xD0C90048, 0x00003104
.long 0xD0C9004C, 0x00003301
.long 0x86CC4C48
.long 0xD1FE0010, 0x020A0903
.long 0xD1000010, 0x01322126
.long 0xD1196A04, 0x00010500
.long 0xD0C90048, 0x00003104
.long 0xD0C9004C, 0x00003301
.long 0x86CC4C48
.long 0xD1FE0012, 0x020A0903
.long 0xD1000012, 0x01322526
.long 0xD1196A04, 0x00010700
.long 0xD0C90048, 0x00003104
.long 0xD0C9004C, 0x00003301
.long 0x86CC4C48
.long 0xD1FE0014, 0x020A0903
.long 0xD1000014, 0x01322926
.long 0xD1196A01, 0x00010301
.long 0xD1340002, 0x00004D02
	;; [unrolled: 26-line block ×4, first 2 shown]
.long 0xD3D8400B, 0x18000108
.long 0xD3D8400D, 0x1800010C
.long 0xD3D8400F, 0x18000101
.long 0xD3D84011, 0x18000105
.long 0xD3D84013, 0x18000109
.long 0xD3D84015, 0x1800010D
.long 0xD3D84017, 0x18000102
.long 0xD3D84019, 0x18000106
.long 0xD3D8401B, 0x1800010A
.long 0xD3D8401D, 0x1800010E
.long 0xD3D8401F, 0x18000103
.long 0xD3D84021, 0x18000107
.long 0xD3D84023, 0x1800010B
.long 0xD3D84025, 0x1800010F
.long 0xBF800001
.long 0xE0701000, 0x80040706
.long 0xE0701000, 0x80040908
	;; [unrolled: 1-line block ×16, first 2 shown]
.long 0xBF800000
.long 0x7E4C02FF, 0x80000000
.long 0xD1196A01, 0x00011B01
.long 0x92488D26
.long 0xD1340002, 0x00009102
.long 0x92488D24
.long 0xD1340003, 0x00009103
.long 0xD0C90048, 0x00003100
.long 0xD0C9004C, 0x00003301
.long 0x86CC4C48
.long 0xD1FE0006, 0x020A0103
.long 0xD1000006, 0x01320D26
.long 0xD1196A04, 0x00010300
.long 0xD0C90048, 0x00003104
.long 0xD0C9004C, 0x00003301
.long 0x86CC4C48
.long 0xD1FE0008, 0x020A0903
.long 0xD1000008, 0x01321126
.long 0xD1196A04, 0x00010500
.long 0xD0C90048, 0x00003104
.long 0xD0C9004C, 0x00003301
.long 0x86CC4C48
.long 0xD1FE000A, 0x020A0903
.long 0xD100000A, 0x01321526
.long 0xD1196A04, 0x00010700
.long 0xD0C90048, 0x00003104
.long 0xD0C9004C, 0x00003301
.long 0x86CC4C48
.long 0xD1FE000C, 0x020A0903
.long 0xD100000C, 0x01321926
.long 0xD1196A01, 0x00010301
.long 0xD1340002, 0x00004D02
.long 0xD1340003, 0x00004903
.long 0xD0C90048, 0x00003100
.long 0xD0C9004C, 0x00003301
.long 0x86CC4C48
.long 0xD1FE000E, 0x020A0103
.long 0xD100000E, 0x01321D26
.long 0xD1196A04, 0x00010300
.long 0xD0C90048, 0x00003104
.long 0xD0C9004C, 0x00003301
.long 0x86CC4C48
.long 0xD1FE0010, 0x020A0903
.long 0xD1000010, 0x01322126
.long 0xD1196A04, 0x00010500
.long 0xD0C90048, 0x00003104
.long 0xD0C9004C, 0x00003301
.long 0x86CC4C48
.long 0xD1FE0012, 0x020A0903
.long 0xD1000012, 0x01322526
.long 0xD1196A04, 0x00010700
.long 0xD0C90048, 0x00003104
.long 0xD0C9004C, 0x00003301
.long 0x86CC4C48
.long 0xD1FE0014, 0x020A0903
.long 0xD1000014, 0x01322926
.long 0xD1196A01, 0x00010301
.long 0xD1340002, 0x00004D02
	;; [unrolled: 26-line block ×4, first 2 shown]
.long 0xD3D8400B, 0x18000118
.long 0xD3D8400D, 0x1800011C
	;; [unrolled: 1-line block ×14, first 2 shown]
.long 0xBF800001
.long 0xE0701000, 0x80040706
.long 0xE0701000, 0x80040908
	;; [unrolled: 1-line block ×16, first 2 shown]
.long 0xBF800000
.long 0x7E4C02FF, 0x80000000
.long 0xD1196A01, 0x00011B01
.long 0x92488D26
.long 0xD1340002, 0x00009102
.long 0x92488D24
.long 0xD1340003, 0x00009103
.long 0xD0C90048, 0x00003100
.long 0xD0C9004C, 0x00003301
.long 0x86CC4C48
.long 0xD1FE0006, 0x020A0103
.long 0xD1000006, 0x01320D26
.long 0xD1196A04, 0x00010300
.long 0xD0C90048, 0x00003104
.long 0xD0C9004C, 0x00003301
.long 0x86CC4C48
.long 0xD1FE0008, 0x020A0903
.long 0xD1000008, 0x01321126
.long 0xD1196A04, 0x00010500
.long 0xD0C90048, 0x00003104
.long 0xD0C9004C, 0x00003301
.long 0x86CC4C48
.long 0xD1FE000A, 0x020A0903
.long 0xD100000A, 0x01321526
.long 0xD1196A04, 0x00010700
.long 0xD0C90048, 0x00003104
.long 0xD0C9004C, 0x00003301
.long 0x86CC4C48
.long 0xD1FE000C, 0x020A0903
.long 0xD100000C, 0x01321926
.long 0xD1196A01, 0x00010301
.long 0xD1340002, 0x00004D02
.long 0xD1340003, 0x00004903
.long 0xD0C90048, 0x00003100
.long 0xD0C9004C, 0x00003301
.long 0x86CC4C48
.long 0xD1FE000E, 0x020A0103
.long 0xD100000E, 0x01321D26
.long 0xD1196A04, 0x00010300
.long 0xD0C90048, 0x00003104
.long 0xD0C9004C, 0x00003301
.long 0x86CC4C48
.long 0xD1FE0010, 0x020A0903
.long 0xD1000010, 0x01322126
.long 0xD1196A04, 0x00010500
.long 0xD0C90048, 0x00003104
.long 0xD0C9004C, 0x00003301
.long 0x86CC4C48
.long 0xD1FE0012, 0x020A0903
.long 0xD1000012, 0x01322526
.long 0xD1196A04, 0x00010700
.long 0xD0C90048, 0x00003104
.long 0xD0C9004C, 0x00003301
.long 0x86CC4C48
.long 0xD1FE0014, 0x020A0903
.long 0xD1000014, 0x01322926
.long 0xD1196A01, 0x00010301
.long 0xD1340002, 0x00004D02
	;; [unrolled: 26-line block ×4, first 2 shown]
.long 0xD3D8400B, 0x18000128
.long 0xD3D8400D, 0x1800012C
	;; [unrolled: 1-line block ×14, first 2 shown]
.long 0xBF800001
.long 0xE0701000, 0x80040706
.long 0xE0701000, 0x80040908
	;; [unrolled: 1-line block ×16, first 2 shown]
.long 0xBF800000
.long 0x7E4C02FF, 0x80000000
.long 0xD1196A01, 0x00011B01
.long 0x92488D26
.long 0xD1340002, 0x00009102
.long 0x92488D24
.long 0xD1340003, 0x00009103
.long 0xD0C90048, 0x00003100
.long 0xD0C9004C, 0x00003301
.long 0x86CC4C48
.long 0xD1FE0006, 0x020A0103
.long 0xD1000006, 0x01320D26
.long 0xD1196A04, 0x00010300
.long 0xD0C90048, 0x00003104
.long 0xD0C9004C, 0x00003301
.long 0x86CC4C48
.long 0xD1FE0008, 0x020A0903
.long 0xD1000008, 0x01321126
.long 0xD1196A04, 0x00010500
.long 0xD0C90048, 0x00003104
.long 0xD0C9004C, 0x00003301
.long 0x86CC4C48
.long 0xD1FE000A, 0x020A0903
.long 0xD100000A, 0x01321526
.long 0xD1196A04, 0x00010700
.long 0xD0C90048, 0x00003104
.long 0xD0C9004C, 0x00003301
.long 0x86CC4C48
.long 0xD1FE000C, 0x020A0903
.long 0xD100000C, 0x01321926
.long 0xD1196A01, 0x00010301
.long 0xD1340002, 0x00004D02
.long 0xD1340003, 0x00004903
.long 0xD0C90048, 0x00003100
.long 0xD0C9004C, 0x00003301
.long 0x86CC4C48
.long 0xD1FE000E, 0x020A0103
.long 0xD100000E, 0x01321D26
.long 0xD1196A04, 0x00010300
.long 0xD0C90048, 0x00003104
.long 0xD0C9004C, 0x00003301
.long 0x86CC4C48
.long 0xD1FE0010, 0x020A0903
.long 0xD1000010, 0x01322126
.long 0xD1196A04, 0x00010500
.long 0xD0C90048, 0x00003104
.long 0xD0C9004C, 0x00003301
.long 0x86CC4C48
.long 0xD1FE0012, 0x020A0903
.long 0xD1000012, 0x01322526
.long 0xD1196A04, 0x00010700
.long 0xD0C90048, 0x00003104
.long 0xD0C9004C, 0x00003301
.long 0x86CC4C48
.long 0xD1FE0014, 0x020A0903
.long 0xD1000014, 0x01322926
.long 0xD1196A01, 0x00010301
.long 0xD1340002, 0x00004D02
	;; [unrolled: 26-line block ×4, first 2 shown]
.long 0xD3D8400B, 0x18000138
.long 0xD3D8400D, 0x1800013C
	;; [unrolled: 1-line block ×14, first 2 shown]
.long 0xBF800001
.long 0xE0701000, 0x80040706
.long 0xE0701000, 0x80040908
	;; [unrolled: 1-line block ×16, first 2 shown]
.long 0xBF800000
.long 0x7E4C02FF, 0x80000000
.long 0xD1196A01, 0x00011B01
.long 0x92488D26
.long 0xD1340002, 0x00009102
.long 0x92488D24
.long 0xD1340003, 0x00009103
.long 0xD0C90048, 0x00003100
.long 0xD0C9004C, 0x00003301
.long 0x86CC4C48
.long 0xD1FE0006, 0x020A0103
.long 0xD1000006, 0x01320D26
.long 0xD1196A04, 0x00010300
.long 0xD0C90048, 0x00003104
.long 0xD0C9004C, 0x00003301
.long 0x86CC4C48
.long 0xD1FE0008, 0x020A0903
.long 0xD1000008, 0x01321126
.long 0xD1196A04, 0x00010500
.long 0xD0C90048, 0x00003104
.long 0xD0C9004C, 0x00003301
.long 0x86CC4C48
.long 0xD1FE000A, 0x020A0903
.long 0xD100000A, 0x01321526
.long 0xD1196A04, 0x00010700
.long 0xD0C90048, 0x00003104
.long 0xD0C9004C, 0x00003301
.long 0x86CC4C48
.long 0xD1FE000C, 0x020A0903
.long 0xD100000C, 0x01321926
.long 0xD1196A01, 0x00010301
.long 0xD1340002, 0x00004D02
.long 0xD1340003, 0x00004903
.long 0xD0C90048, 0x00003100
.long 0xD0C9004C, 0x00003301
.long 0x86CC4C48
.long 0xD1FE000E, 0x020A0103
.long 0xD100000E, 0x01321D26
.long 0xD1196A04, 0x00010300
.long 0xD0C90048, 0x00003104
.long 0xD0C9004C, 0x00003301
.long 0x86CC4C48
.long 0xD1FE0010, 0x020A0903
.long 0xD1000010, 0x01322126
.long 0xD1196A04, 0x00010500
.long 0xD0C90048, 0x00003104
.long 0xD0C9004C, 0x00003301
.long 0x86CC4C48
.long 0xD1FE0012, 0x020A0903
.long 0xD1000012, 0x01322526
.long 0xD1196A04, 0x00010700
.long 0xD0C90048, 0x00003104
.long 0xD0C9004C, 0x00003301
.long 0x86CC4C48
.long 0xD1FE0014, 0x020A0903
.long 0xD1000014, 0x01322926
.long 0xD1196A01, 0x00010301
.long 0xD1340002, 0x00004D02
	;; [unrolled: 26-line block ×4, first 2 shown]
.long 0xD3D8400B, 0x18000148
.long 0xD3D8400D, 0x1800014C
	;; [unrolled: 1-line block ×14, first 2 shown]
.long 0xBF800001
.long 0xE0701000, 0x80040706
.long 0xE0701000, 0x80040908
	;; [unrolled: 1-line block ×16, first 2 shown]
.long 0xBF800000
.long 0x7E4C02FF, 0x80000000
.long 0xD1196A01, 0x00011B01
.long 0x92488D26
.long 0xD1340002, 0x00009102
.long 0x92488D24
.long 0xD1340003, 0x00009103
.long 0xD0C90048, 0x00003100
.long 0xD0C9004C, 0x00003301
.long 0x86CC4C48
.long 0xD1FE0006, 0x020A0103
.long 0xD1000006, 0x01320D26
.long 0xD1196A04, 0x00010300
.long 0xD0C90048, 0x00003104
.long 0xD0C9004C, 0x00003301
.long 0x86CC4C48
.long 0xD1FE0008, 0x020A0903
.long 0xD1000008, 0x01321126
.long 0xD1196A04, 0x00010500
.long 0xD0C90048, 0x00003104
.long 0xD0C9004C, 0x00003301
.long 0x86CC4C48
.long 0xD1FE000A, 0x020A0903
.long 0xD100000A, 0x01321526
.long 0xD1196A04, 0x00010700
.long 0xD0C90048, 0x00003104
.long 0xD0C9004C, 0x00003301
.long 0x86CC4C48
.long 0xD1FE000C, 0x020A0903
.long 0xD100000C, 0x01321926
.long 0xD1196A01, 0x00010301
.long 0xD1340002, 0x00004D02
.long 0xD1340003, 0x00004903
.long 0xD0C90048, 0x00003100
.long 0xD0C9004C, 0x00003301
.long 0x86CC4C48
.long 0xD1FE000E, 0x020A0103
.long 0xD100000E, 0x01321D26
.long 0xD1196A04, 0x00010300
.long 0xD0C90048, 0x00003104
.long 0xD0C9004C, 0x00003301
.long 0x86CC4C48
.long 0xD1FE0010, 0x020A0903
.long 0xD1000010, 0x01322126
.long 0xD1196A04, 0x00010500
.long 0xD0C90048, 0x00003104
.long 0xD0C9004C, 0x00003301
.long 0x86CC4C48
.long 0xD1FE0012, 0x020A0903
.long 0xD1000012, 0x01322526
.long 0xD1196A04, 0x00010700
.long 0xD0C90048, 0x00003104
.long 0xD0C9004C, 0x00003301
.long 0x86CC4C48
.long 0xD1FE0014, 0x020A0903
.long 0xD1000014, 0x01322926
.long 0xD1196A01, 0x00010301
.long 0xD1340002, 0x00004D02
	;; [unrolled: 26-line block ×4, first 2 shown]
.long 0xD3D8400B, 0x18000158
.long 0xD3D8400D, 0x1800015C
	;; [unrolled: 1-line block ×14, first 2 shown]
.long 0xBF800001
.long 0xE0701000, 0x80040706
.long 0xE0701000, 0x80040908
	;; [unrolled: 1-line block ×16, first 2 shown]
.long 0xBF800000
.long 0x7E4C02FF, 0x80000000
.long 0xD1196A01, 0x00011B01
.long 0x92488D26
.long 0xD1340002, 0x00009102
.long 0x92488D24
.long 0xD1340003, 0x00009103
.long 0xD0C90048, 0x00003100
.long 0xD0C9004C, 0x00003301
.long 0x86CC4C48
.long 0xD1FE0006, 0x020A0103
.long 0xD1000006, 0x01320D26
.long 0xD1196A04, 0x00010300
.long 0xD0C90048, 0x00003104
.long 0xD0C9004C, 0x00003301
.long 0x86CC4C48
.long 0xD1FE0008, 0x020A0903
.long 0xD1000008, 0x01321126
.long 0xD1196A04, 0x00010500
.long 0xD0C90048, 0x00003104
.long 0xD0C9004C, 0x00003301
.long 0x86CC4C48
.long 0xD1FE000A, 0x020A0903
.long 0xD100000A, 0x01321526
.long 0xD1196A04, 0x00010700
.long 0xD0C90048, 0x00003104
.long 0xD0C9004C, 0x00003301
.long 0x86CC4C48
.long 0xD1FE000C, 0x020A0903
.long 0xD100000C, 0x01321926
.long 0xD1196A01, 0x00010301
.long 0xD1340002, 0x00004D02
.long 0xD1340003, 0x00004903
.long 0xD0C90048, 0x00003100
.long 0xD0C9004C, 0x00003301
.long 0x86CC4C48
.long 0xD1FE000E, 0x020A0103
.long 0xD100000E, 0x01321D26
.long 0xD1196A04, 0x00010300
.long 0xD0C90048, 0x00003104
.long 0xD0C9004C, 0x00003301
.long 0x86CC4C48
.long 0xD1FE0010, 0x020A0903
.long 0xD1000010, 0x01322126
.long 0xD1196A04, 0x00010500
.long 0xD0C90048, 0x00003104
.long 0xD0C9004C, 0x00003301
.long 0x86CC4C48
.long 0xD1FE0012, 0x020A0903
.long 0xD1000012, 0x01322526
.long 0xD1196A04, 0x00010700
.long 0xD0C90048, 0x00003104
.long 0xD0C9004C, 0x00003301
.long 0x86CC4C48
.long 0xD1FE0014, 0x020A0903
.long 0xD1000014, 0x01322926
.long 0xD1196A01, 0x00010301
.long 0xD1340002, 0x00004D02
	;; [unrolled: 26-line block ×4, first 2 shown]
.long 0xD3D8400B, 0x18000168
.long 0xD3D8400D, 0x1800016C
	;; [unrolled: 1-line block ×14, first 2 shown]
.long 0xBF800001
.long 0xE0701000, 0x80040706
.long 0xE0701000, 0x80040908
	;; [unrolled: 1-line block ×16, first 2 shown]
.long 0xBF800000
.long 0x7E4C02FF, 0x80000000
.long 0xD1196A01, 0x00011B01
.long 0x92488D26
.long 0xD1340002, 0x00009102
.long 0x92488D24
.long 0xD1340003, 0x00009103
.long 0xD0C90048, 0x00003100
.long 0xD0C9004C, 0x00003301
.long 0x86CC4C48
.long 0xD1FE0006, 0x020A0103
.long 0xD1000006, 0x01320D26
.long 0xD1196A04, 0x00010300
.long 0xD0C90048, 0x00003104
.long 0xD0C9004C, 0x00003301
.long 0x86CC4C48
.long 0xD1FE0008, 0x020A0903
.long 0xD1000008, 0x01321126
.long 0xD1196A04, 0x00010500
.long 0xD0C90048, 0x00003104
.long 0xD0C9004C, 0x00003301
.long 0x86CC4C48
.long 0xD1FE000A, 0x020A0903
.long 0xD100000A, 0x01321526
.long 0xD1196A04, 0x00010700
.long 0xD0C90048, 0x00003104
.long 0xD0C9004C, 0x00003301
.long 0x86CC4C48
.long 0xD1FE000C, 0x020A0903
.long 0xD100000C, 0x01321926
.long 0xD1196A01, 0x00010301
.long 0xD1340002, 0x00004D02
.long 0xD1340003, 0x00004903
.long 0xD0C90048, 0x00003100
.long 0xD0C9004C, 0x00003301
.long 0x86CC4C48
.long 0xD1FE000E, 0x020A0103
.long 0xD100000E, 0x01321D26
.long 0xD1196A04, 0x00010300
.long 0xD0C90048, 0x00003104
.long 0xD0C9004C, 0x00003301
.long 0x86CC4C48
.long 0xD1FE0010, 0x020A0903
.long 0xD1000010, 0x01322126
.long 0xD1196A04, 0x00010500
.long 0xD0C90048, 0x00003104
.long 0xD0C9004C, 0x00003301
.long 0x86CC4C48
.long 0xD1FE0012, 0x020A0903
.long 0xD1000012, 0x01322526
.long 0xD1196A04, 0x00010700
.long 0xD0C90048, 0x00003104
.long 0xD0C9004C, 0x00003301
.long 0x86CC4C48
.long 0xD1FE0014, 0x020A0903
.long 0xD1000014, 0x01322926
.long 0xD1196A01, 0x00010301
.long 0xD1340002, 0x00004D02
	;; [unrolled: 26-line block ×4, first 2 shown]
.long 0xD3D8400B, 0x18000178
.long 0xD3D8400D, 0x1800017C
	;; [unrolled: 1-line block ×14, first 2 shown]
.long 0xBF800001
.long 0xE0701000, 0x80040706
.long 0xE0701000, 0x80040908
	;; [unrolled: 1-line block ×16, first 2 shown]
.long 0xBF800000
.long 0x7E4C02FF, 0x80000000
.long 0xD1196A01, 0x00011B01
.long 0x92488D26
.long 0xD1340002, 0x00009102
.long 0x92488D24
.long 0xD1340003, 0x00009103
.long 0xD0C90048, 0x00003100
.long 0xD0C9004C, 0x00003301
.long 0x86CC4C48
.long 0xD1FE0006, 0x020A0103
.long 0xD1000006, 0x01320D26
.long 0xD1196A04, 0x00010300
.long 0xD0C90048, 0x00003104
.long 0xD0C9004C, 0x00003301
.long 0x86CC4C48
.long 0xD1FE0008, 0x020A0903
.long 0xD1000008, 0x01321126
.long 0xD1196A04, 0x00010500
.long 0xD0C90048, 0x00003104
.long 0xD0C9004C, 0x00003301
.long 0x86CC4C48
.long 0xD1FE000A, 0x020A0903
.long 0xD100000A, 0x01321526
.long 0xD1196A04, 0x00010700
.long 0xD0C90048, 0x00003104
.long 0xD0C9004C, 0x00003301
.long 0x86CC4C48
.long 0xD1FE000C, 0x020A0903
.long 0xD100000C, 0x01321926
.long 0xD1196A01, 0x00010301
.long 0xD1340002, 0x00004D02
.long 0xD1340003, 0x00004903
.long 0xD0C90048, 0x00003100
.long 0xD0C9004C, 0x00003301
.long 0x86CC4C48
.long 0xD1FE000E, 0x020A0103
.long 0xD100000E, 0x01321D26
.long 0xD1196A04, 0x00010300
.long 0xD0C90048, 0x00003104
.long 0xD0C9004C, 0x00003301
.long 0x86CC4C48
.long 0xD1FE0010, 0x020A0903
.long 0xD1000010, 0x01322126
.long 0xD1196A04, 0x00010500
.long 0xD0C90048, 0x00003104
.long 0xD0C9004C, 0x00003301
.long 0x86CC4C48
.long 0xD1FE0012, 0x020A0903
.long 0xD1000012, 0x01322526
.long 0xD1196A04, 0x00010700
.long 0xD0C90048, 0x00003104
.long 0xD0C9004C, 0x00003301
.long 0x86CC4C48
.long 0xD1FE0014, 0x020A0903
.long 0xD1000014, 0x01322926
.long 0xD1196A01, 0x00010301
.long 0xD1340002, 0x00004D02
	;; [unrolled: 26-line block ×4, first 2 shown]
.long 0xD3D8400B, 0x18000188
.long 0xD3D8400D, 0x1800018C
	;; [unrolled: 1-line block ×14, first 2 shown]
.long 0xBF800001
.long 0xE0701000, 0x80040706
.long 0xE0701000, 0x80040908
	;; [unrolled: 1-line block ×16, first 2 shown]
.long 0xBF800000
.long 0x7E4C02FF, 0x80000000
.long 0xD1196A01, 0x00011B01
.long 0x92488D26
.long 0xD1340002, 0x00009102
.long 0x92488D24
.long 0xD1340003, 0x00009103
.long 0xD0C90048, 0x00003100
.long 0xD0C9004C, 0x00003301
.long 0x86CC4C48
.long 0xD1FE0006, 0x020A0103
.long 0xD1000006, 0x01320D26
.long 0xD1196A04, 0x00010300
.long 0xD0C90048, 0x00003104
.long 0xD0C9004C, 0x00003301
.long 0x86CC4C48
.long 0xD1FE0008, 0x020A0903
.long 0xD1000008, 0x01321126
.long 0xD1196A04, 0x00010500
.long 0xD0C90048, 0x00003104
.long 0xD0C9004C, 0x00003301
.long 0x86CC4C48
.long 0xD1FE000A, 0x020A0903
.long 0xD100000A, 0x01321526
.long 0xD1196A04, 0x00010700
.long 0xD0C90048, 0x00003104
.long 0xD0C9004C, 0x00003301
.long 0x86CC4C48
.long 0xD1FE000C, 0x020A0903
.long 0xD100000C, 0x01321926
.long 0xD1196A01, 0x00010301
.long 0xD1340002, 0x00004D02
.long 0xD1340003, 0x00004903
.long 0xD0C90048, 0x00003100
.long 0xD0C9004C, 0x00003301
.long 0x86CC4C48
.long 0xD1FE000E, 0x020A0103
.long 0xD100000E, 0x01321D26
.long 0xD1196A04, 0x00010300
.long 0xD0C90048, 0x00003104
.long 0xD0C9004C, 0x00003301
.long 0x86CC4C48
.long 0xD1FE0010, 0x020A0903
.long 0xD1000010, 0x01322126
.long 0xD1196A04, 0x00010500
.long 0xD0C90048, 0x00003104
.long 0xD0C9004C, 0x00003301
.long 0x86CC4C48
.long 0xD1FE0012, 0x020A0903
.long 0xD1000012, 0x01322526
.long 0xD1196A04, 0x00010700
.long 0xD0C90048, 0x00003104
.long 0xD0C9004C, 0x00003301
.long 0x86CC4C48
.long 0xD1FE0014, 0x020A0903
.long 0xD1000014, 0x01322926
.long 0xD1196A01, 0x00010301
.long 0xD1340002, 0x00004D02
.long 0xD1340003, 0x00004903
.long 0xD0C90048, 0x00003100
.long 0xD0C9004C, 0x00003301
.long 0x86CC4C48
.long 0xD1FE0016, 0x020A0103
.long 0xD1000016, 0x01322D26
.long 0xD1196A04, 0x00010300
.long 0xD0C90048, 0x00003104
.long 0xD0C9004C, 0x00003301
.long 0x86CC4C48
.long 0xD1FE0018, 0x020A0903
.long 0xD1000018, 0x01323126
.long 0xD1196A04, 0x00010500
.long 0xD0C90048, 0x00003104
.long 0xD0C9004C, 0x00003301
.long 0x86CC4C48
.long 0xD1FE001A, 0x020A0903
.long 0xD100001A, 0x01323526
.long 0xD1196A04, 0x00010700
.long 0xD0C90048, 0x00003104
.long 0xD0C9004C, 0x00003301
.long 0x86CC4C48
.long 0xD1FE001C, 0x020A0903
.long 0xD100001C, 0x01323926
.long 0xD1196A01, 0x00010301
.long 0xD1340002, 0x00004D02
.long 0xD1340003, 0x00004903
.long 0xD0C90048, 0x00003100
.long 0xD0C9004C, 0x00003301
.long 0x86CC4C48
.long 0xD1FE001E, 0x020A0103
.long 0xD100001E, 0x01323D26
.long 0xD1196A04, 0x00010300
.long 0xD0C90048, 0x00003104
.long 0xD0C9004C, 0x00003301
.long 0x86CC4C48
.long 0xD1FE0020, 0x020A0903
.long 0xD1000020, 0x01324126
.long 0xD1196A04, 0x00010500
.long 0xD0C90048, 0x00003104
.long 0xD0C9004C, 0x00003301
.long 0x86CC4C48
.long 0xD1FE0022, 0x020A0903
.long 0xD1000022, 0x01324526
.long 0xD1196A04, 0x00010700
.long 0xD0C90048, 0x00003104
.long 0xD0C9004C, 0x00003301
.long 0x86CC4C48
.long 0xD1FE0024, 0x020A0903
.long 0xD1000024, 0x01324926
.long 0xD3D84007, 0x18000190
.long 0xD3D84009, 0x18000194
.long 0xD3D8400B, 0x18000198
.long 0xD3D8400D, 0x1800019C
	;; [unrolled: 1-line block ×14, first 2 shown]
.long 0xBF800001
.long 0xE0701000, 0x80040706
.long 0xE0701000, 0x80040908
	;; [unrolled: 1-line block ×16, first 2 shown]
.long 0xBF800000
.long 0x7E4C02FF, 0x80000000
.long 0xD1196A01, 0x00011B01
.long 0x92488D26
.long 0xD1340002, 0x00009102
.long 0x92488D24
.long 0xD1340003, 0x00009103
.long 0xD0C90048, 0x00003100
.long 0xD0C9004C, 0x00003301
.long 0x86CC4C48
.long 0xD1FE0006, 0x020A0103
.long 0xD1000006, 0x01320D26
.long 0xD1196A04, 0x00010300
.long 0xD0C90048, 0x00003104
.long 0xD0C9004C, 0x00003301
.long 0x86CC4C48
.long 0xD1FE0008, 0x020A0903
.long 0xD1000008, 0x01321126
.long 0xD1196A04, 0x00010500
.long 0xD0C90048, 0x00003104
.long 0xD0C9004C, 0x00003301
.long 0x86CC4C48
.long 0xD1FE000A, 0x020A0903
.long 0xD100000A, 0x01321526
.long 0xD1196A04, 0x00010700
.long 0xD0C90048, 0x00003104
.long 0xD0C9004C, 0x00003301
.long 0x86CC4C48
.long 0xD1FE000C, 0x020A0903
.long 0xD100000C, 0x01321926
.long 0xD1196A01, 0x00010301
.long 0xD1340002, 0x00004D02
.long 0xD1340003, 0x00004903
.long 0xD0C90048, 0x00003100
.long 0xD0C9004C, 0x00003301
.long 0x86CC4C48
.long 0xD1FE000E, 0x020A0103
.long 0xD100000E, 0x01321D26
.long 0xD1196A04, 0x00010300
.long 0xD0C90048, 0x00003104
.long 0xD0C9004C, 0x00003301
.long 0x86CC4C48
.long 0xD1FE0010, 0x020A0903
.long 0xD1000010, 0x01322126
.long 0xD1196A04, 0x00010500
.long 0xD0C90048, 0x00003104
.long 0xD0C9004C, 0x00003301
.long 0x86CC4C48
.long 0xD1FE0012, 0x020A0903
.long 0xD1000012, 0x01322526
.long 0xD1196A04, 0x00010700
.long 0xD0C90048, 0x00003104
.long 0xD0C9004C, 0x00003301
.long 0x86CC4C48
.long 0xD1FE0014, 0x020A0903
.long 0xD1000014, 0x01322926
.long 0xD1196A01, 0x00010301
.long 0xD1340002, 0x00004D02
.long 0xD1340003, 0x00004903
.long 0xD0C90048, 0x00003100
.long 0xD0C9004C, 0x00003301
.long 0x86CC4C48
.long 0xD1FE0016, 0x020A0103
.long 0xD1000016, 0x01322D26
.long 0xD1196A04, 0x00010300
.long 0xD0C90048, 0x00003104
.long 0xD0C9004C, 0x00003301
.long 0x86CC4C48
.long 0xD1FE0018, 0x020A0903
.long 0xD1000018, 0x01323126
.long 0xD1196A04, 0x00010500
.long 0xD0C90048, 0x00003104
.long 0xD0C9004C, 0x00003301
.long 0x86CC4C48
.long 0xD1FE001A, 0x020A0903
.long 0xD100001A, 0x01323526
.long 0xD1196A04, 0x00010700
.long 0xD0C90048, 0x00003104
.long 0xD0C9004C, 0x00003301
.long 0x86CC4C48
.long 0xD1FE001C, 0x020A0903
.long 0xD100001C, 0x01323926
.long 0xD1196A01, 0x00010301
.long 0xD1340002, 0x00004D02
.long 0xD1340003, 0x00004903
.long 0xD0C90048, 0x00003100
.long 0xD0C9004C, 0x00003301
.long 0x86CC4C48
.long 0xD1FE001E, 0x020A0103
.long 0xD100001E, 0x01323D26
.long 0xD1196A04, 0x00010300
.long 0xD0C90048, 0x00003104
.long 0xD0C9004C, 0x00003301
.long 0x86CC4C48
.long 0xD1FE0020, 0x020A0903
.long 0xD1000020, 0x01324126
.long 0xD1196A04, 0x00010500
.long 0xD0C90048, 0x00003104
.long 0xD0C9004C, 0x00003301
.long 0x86CC4C48
.long 0xD1FE0022, 0x020A0903
.long 0xD1000022, 0x01324526
.long 0xD1196A04, 0x00010700
.long 0xD0C90048, 0x00003104
.long 0xD0C9004C, 0x00003301
.long 0x86CC4C48
.long 0xD1FE0024, 0x020A0903
.long 0xD1000024, 0x01324926
.long 0xD3D84007, 0x180001A0
.long 0xD3D84009, 0x180001A4
.long 0xD3D8400B, 0x180001A8
.long 0xD3D8400D, 0x180001AC
	;; [unrolled: 1-line block ×14, first 2 shown]
.long 0xBF800001
.long 0xE0701000, 0x80040706
.long 0xE0701000, 0x80040908
	;; [unrolled: 1-line block ×16, first 2 shown]
.long 0xBF800000
.long 0x7E4C02FF, 0x80000000
.long 0xD1196A01, 0x00011B01
.long 0x92488D26
.long 0xD1340002, 0x00009102
.long 0x92488D24
.long 0xD1340003, 0x00009103
.long 0xD0C90048, 0x00003100
.long 0xD0C9004C, 0x00003301
.long 0x86CC4C48
.long 0xD1FE0006, 0x020A0103
.long 0xD1000006, 0x01320D26
.long 0xD1196A04, 0x00010300
.long 0xD0C90048, 0x00003104
.long 0xD0C9004C, 0x00003301
.long 0x86CC4C48
.long 0xD1FE0008, 0x020A0903
.long 0xD1000008, 0x01321126
.long 0xD1196A04, 0x00010500
.long 0xD0C90048, 0x00003104
.long 0xD0C9004C, 0x00003301
.long 0x86CC4C48
.long 0xD1FE000A, 0x020A0903
.long 0xD100000A, 0x01321526
.long 0xD1196A04, 0x00010700
.long 0xD0C90048, 0x00003104
.long 0xD0C9004C, 0x00003301
.long 0x86CC4C48
.long 0xD1FE000C, 0x020A0903
.long 0xD100000C, 0x01321926
.long 0xD1196A01, 0x00010301
.long 0xD1340002, 0x00004D02
.long 0xD1340003, 0x00004903
.long 0xD0C90048, 0x00003100
.long 0xD0C9004C, 0x00003301
.long 0x86CC4C48
.long 0xD1FE000E, 0x020A0103
.long 0xD100000E, 0x01321D26
.long 0xD1196A04, 0x00010300
.long 0xD0C90048, 0x00003104
.long 0xD0C9004C, 0x00003301
.long 0x86CC4C48
.long 0xD1FE0010, 0x020A0903
.long 0xD1000010, 0x01322126
.long 0xD1196A04, 0x00010500
.long 0xD0C90048, 0x00003104
.long 0xD0C9004C, 0x00003301
.long 0x86CC4C48
.long 0xD1FE0012, 0x020A0903
.long 0xD1000012, 0x01322526
.long 0xD1196A04, 0x00010700
.long 0xD0C90048, 0x00003104
.long 0xD0C9004C, 0x00003301
.long 0x86CC4C48
.long 0xD1FE0014, 0x020A0903
.long 0xD1000014, 0x01322926
.long 0xD1196A01, 0x00010301
.long 0xD1340002, 0x00004D02
	;; [unrolled: 26-line block ×4, first 2 shown]
.long 0xD3D8400B, 0x180001B8
.long 0xD3D8400D, 0x180001BC
	;; [unrolled: 1-line block ×14, first 2 shown]
.long 0xBF800001
.long 0xE0701000, 0x80040706
.long 0xE0701000, 0x80040908
	;; [unrolled: 1-line block ×16, first 2 shown]
.long 0xBF800000
.long 0x7E4C02FF, 0x80000000
.long 0xD1196A01, 0x00011B01
.long 0x92488D26
.long 0xD1340002, 0x00009102
.long 0x92488D24
.long 0xD1340003, 0x00009103
.long 0xD0C90048, 0x00003100
.long 0xD0C9004C, 0x00003301
.long 0x86CC4C48
.long 0xD1FE0006, 0x020A0103
.long 0xD1000006, 0x01320D26
.long 0xD1196A04, 0x00010300
.long 0xD0C90048, 0x00003104
.long 0xD0C9004C, 0x00003301
.long 0x86CC4C48
.long 0xD1FE0008, 0x020A0903
.long 0xD1000008, 0x01321126
.long 0xD1196A04, 0x00010500
.long 0xD0C90048, 0x00003104
.long 0xD0C9004C, 0x00003301
.long 0x86CC4C48
.long 0xD1FE000A, 0x020A0903
.long 0xD100000A, 0x01321526
.long 0xD1196A04, 0x00010700
.long 0xD0C90048, 0x00003104
.long 0xD0C9004C, 0x00003301
.long 0x86CC4C48
.long 0xD1FE000C, 0x020A0903
.long 0xD100000C, 0x01321926
.long 0xD1196A01, 0x00010301
.long 0xD1340002, 0x00004D02
.long 0xD1340003, 0x00004903
.long 0xD0C90048, 0x00003100
.long 0xD0C9004C, 0x00003301
.long 0x86CC4C48
.long 0xD1FE000E, 0x020A0103
.long 0xD100000E, 0x01321D26
.long 0xD1196A04, 0x00010300
.long 0xD0C90048, 0x00003104
.long 0xD0C9004C, 0x00003301
.long 0x86CC4C48
.long 0xD1FE0010, 0x020A0903
.long 0xD1000010, 0x01322126
.long 0xD1196A04, 0x00010500
.long 0xD0C90048, 0x00003104
.long 0xD0C9004C, 0x00003301
.long 0x86CC4C48
.long 0xD1FE0012, 0x020A0903
.long 0xD1000012, 0x01322526
.long 0xD1196A04, 0x00010700
.long 0xD0C90048, 0x00003104
.long 0xD0C9004C, 0x00003301
.long 0x86CC4C48
.long 0xD1FE0014, 0x020A0903
.long 0xD1000014, 0x01322926
.long 0xD1196A01, 0x00010301
.long 0xD1340002, 0x00004D02
	;; [unrolled: 26-line block ×4, first 2 shown]
.long 0xD3D8400B, 0x180001C8
.long 0xD3D8400D, 0x180001CC
	;; [unrolled: 1-line block ×14, first 2 shown]
.long 0xBF800001
.long 0xE0701000, 0x80040706
.long 0xE0701000, 0x80040908
	;; [unrolled: 1-line block ×16, first 2 shown]
.long 0xBF800000
.long 0x7E4C02FF, 0x80000000
.long 0xD1196A01, 0x00011B01
.long 0x92488D26
.long 0xD1340002, 0x00009102
.long 0x92488D24
.long 0xD1340003, 0x00009103
.long 0xD0C90048, 0x00003100
.long 0xD0C9004C, 0x00003301
.long 0x86CC4C48
.long 0xD1FE0006, 0x020A0103
.long 0xD1000006, 0x01320D26
.long 0xD1196A04, 0x00010300
.long 0xD0C90048, 0x00003104
.long 0xD0C9004C, 0x00003301
.long 0x86CC4C48
.long 0xD1FE0008, 0x020A0903
.long 0xD1000008, 0x01321126
.long 0xD1196A04, 0x00010500
.long 0xD0C90048, 0x00003104
.long 0xD0C9004C, 0x00003301
.long 0x86CC4C48
.long 0xD1FE000A, 0x020A0903
.long 0xD100000A, 0x01321526
.long 0xD1196A04, 0x00010700
.long 0xD0C90048, 0x00003104
.long 0xD0C9004C, 0x00003301
.long 0x86CC4C48
.long 0xD1FE000C, 0x020A0903
.long 0xD100000C, 0x01321926
.long 0xD1196A01, 0x00010301
.long 0xD1340002, 0x00004D02
.long 0xD1340003, 0x00004903
.long 0xD0C90048, 0x00003100
.long 0xD0C9004C, 0x00003301
.long 0x86CC4C48
.long 0xD1FE000E, 0x020A0103
.long 0xD100000E, 0x01321D26
.long 0xD1196A04, 0x00010300
.long 0xD0C90048, 0x00003104
.long 0xD0C9004C, 0x00003301
.long 0x86CC4C48
.long 0xD1FE0010, 0x020A0903
.long 0xD1000010, 0x01322126
.long 0xD1196A04, 0x00010500
.long 0xD0C90048, 0x00003104
.long 0xD0C9004C, 0x00003301
.long 0x86CC4C48
.long 0xD1FE0012, 0x020A0903
.long 0xD1000012, 0x01322526
.long 0xD1196A04, 0x00010700
.long 0xD0C90048, 0x00003104
.long 0xD0C9004C, 0x00003301
.long 0x86CC4C48
.long 0xD1FE0014, 0x020A0903
.long 0xD1000014, 0x01322926
.long 0xD1196A01, 0x00010301
.long 0xD1340002, 0x00004D02
	;; [unrolled: 26-line block ×4, first 2 shown]
.long 0xD3D8400B, 0x180001D8
.long 0xD3D8400D, 0x180001DC
	;; [unrolled: 1-line block ×14, first 2 shown]
.long 0xBF800001
.long 0xE0701000, 0x80040706
.long 0xE0701000, 0x80040908
.long 0xE0701000, 0x80040B0A
.long 0xE0701000, 0x80040D0C
.long 0xE0701000, 0x80040F0E
.long 0xE0701000, 0x80041110
.long 0xE0701000, 0x80041312
.long 0xE0701000, 0x80041514
.long 0xE0701000, 0x80041716
.long 0xE0701000, 0x80041918
.long 0xE0701000, 0x80041B1A
.long 0xE0701000, 0x80041D1C
.long 0xE0701000, 0x80041F1E
.long 0xE0701000, 0x80042120
.long 0xE0701000, 0x80042322
.long 0xE0701000, 0x80042524
.long 0xBF800000
.long 0x7E4C02FF, 0x80000000
.long 0xD1196A01, 0x00011B01
.long 0x92488D26
.long 0xD1340002, 0x00009102
.long 0x92488D24
.long 0xD1340003, 0x00009103
.long 0xD0C90048, 0x00003100
.long 0xD0C9004C, 0x00003301
.long 0x86CC4C48
.long 0xD1FE0006, 0x020A0103
.long 0xD1000006, 0x01320D26
.long 0xD1196A04, 0x00010300
.long 0xD0C90048, 0x00003104
.long 0xD0C9004C, 0x00003301
.long 0x86CC4C48
.long 0xD1FE0008, 0x020A0903
.long 0xD1000008, 0x01321126
.long 0xD1196A04, 0x00010500
.long 0xD0C90048, 0x00003104
.long 0xD0C9004C, 0x00003301
.long 0x86CC4C48
.long 0xD1FE000A, 0x020A0903
.long 0xD100000A, 0x01321526
.long 0xD1196A04, 0x00010700
.long 0xD0C90048, 0x00003104
.long 0xD0C9004C, 0x00003301
.long 0x86CC4C48
.long 0xD1FE000C, 0x020A0903
.long 0xD100000C, 0x01321926
.long 0xD1196A01, 0x00010301
.long 0xD1340002, 0x00004D02
.long 0xD1340003, 0x00004903
.long 0xD0C90048, 0x00003100
.long 0xD0C9004C, 0x00003301
.long 0x86CC4C48
.long 0xD1FE000E, 0x020A0103
.long 0xD100000E, 0x01321D26
.long 0xD1196A04, 0x00010300
.long 0xD0C90048, 0x00003104
.long 0xD0C9004C, 0x00003301
.long 0x86CC4C48
.long 0xD1FE0010, 0x020A0903
.long 0xD1000010, 0x01322126
.long 0xD1196A04, 0x00010500
.long 0xD0C90048, 0x00003104
.long 0xD0C9004C, 0x00003301
.long 0x86CC4C48
.long 0xD1FE0012, 0x020A0903
.long 0xD1000012, 0x01322526
.long 0xD1196A04, 0x00010700
.long 0xD0C90048, 0x00003104
.long 0xD0C9004C, 0x00003301
.long 0x86CC4C48
.long 0xD1FE0014, 0x020A0903
.long 0xD1000014, 0x01322926
.long 0xD1196A01, 0x00010301
.long 0xD1340002, 0x00004D02
	;; [unrolled: 26-line block ×4, first 2 shown]
.long 0xD3D8400B, 0x180001E8
.long 0xD3D8400D, 0x180001EC
	;; [unrolled: 1-line block ×14, first 2 shown]
.long 0xBF800001
.long 0xE0701000, 0x80040706
.long 0xE0701000, 0x80040908
	;; [unrolled: 1-line block ×16, first 2 shown]
.long 0xBF800000
.long 0x7E4C02FF, 0x80000000
.long 0xD1196A01, 0x00011B01
.long 0x92488D26
.long 0xD1340002, 0x00009102
.long 0x92488D24
.long 0xD1340003, 0x00009103
.long 0xD0C90048, 0x00003100
.long 0xD0C9004C, 0x00003301
.long 0x86CC4C48
.long 0xD1FE0006, 0x020A0103
.long 0xD1000006, 0x01320D26
.long 0xD1196A04, 0x00010300
.long 0xD0C90048, 0x00003104
.long 0xD0C9004C, 0x00003301
.long 0x86CC4C48
.long 0xD1FE0008, 0x020A0903
.long 0xD1000008, 0x01321126
.long 0xD1196A04, 0x00010500
.long 0xD0C90048, 0x00003104
.long 0xD0C9004C, 0x00003301
.long 0x86CC4C48
.long 0xD1FE000A, 0x020A0903
.long 0xD100000A, 0x01321526
.long 0xD1196A04, 0x00010700
.long 0xD0C90048, 0x00003104
.long 0xD0C9004C, 0x00003301
.long 0x86CC4C48
.long 0xD1FE000C, 0x020A0903
.long 0xD100000C, 0x01321926
.long 0xD1196A01, 0x00010301
.long 0xD1340002, 0x00004D02
.long 0xD1340003, 0x00004903
.long 0xD0C90048, 0x00003100
.long 0xD0C9004C, 0x00003301
.long 0x86CC4C48
.long 0xD1FE000E, 0x020A0103
.long 0xD100000E, 0x01321D26
.long 0xD1196A04, 0x00010300
.long 0xD0C90048, 0x00003104
.long 0xD0C9004C, 0x00003301
.long 0x86CC4C48
.long 0xD1FE0010, 0x020A0903
.long 0xD1000010, 0x01322126
.long 0xD1196A04, 0x00010500
.long 0xD0C90048, 0x00003104
.long 0xD0C9004C, 0x00003301
.long 0x86CC4C48
.long 0xD1FE0012, 0x020A0903
.long 0xD1000012, 0x01322526
.long 0xD1196A04, 0x00010700
.long 0xD0C90048, 0x00003104
.long 0xD0C9004C, 0x00003301
.long 0x86CC4C48
.long 0xD1FE0014, 0x020A0903
.long 0xD1000014, 0x01322926
.long 0xD1196A01, 0x00010301
.long 0xD1340002, 0x00004D02
	;; [unrolled: 26-line block ×4, first 2 shown]
.long 0xD3D8400B, 0x180001F8
.long 0xD3D8400D, 0x180001FC
.long 0xD3D8400F, 0x180001F1
.long 0xD3D84011, 0x180001F5
.long 0xD3D84013, 0x180001F9
.long 0xD3D84015, 0x180001FD
.long 0xD3D84017, 0x180001F2
.long 0xD3D84019, 0x180001F6
.long 0xD3D8401B, 0x180001FA
.long 0xD3D8401D, 0x180001FE
.long 0xD3D8401F, 0x180001F3
.long 0xD3D84021, 0x180001F7
.long 0xD3D84023, 0x180001FB
.long 0xD3D84025, 0x180001FF
.long 0xBF800001
.long 0xE0701000, 0x80040706
.long 0xE0701000, 0x80040908
	;; [unrolled: 1-line block ×16, first 2 shown]
.long 0xBF800000
.long 0xBF820000
.long 0xBEC81C00
.long 0x814A84FF, 0x0001A254
.long 0x80484A48
.long 0x82498049
	;; [unrolled: 1-line block ×6, first 2 shown]
.long 0xC0020158, 0x00000000
.long 0xBEAF00F2
.long 0xBF128032
	;; [unrolled: 1-line block ×3, first 2 shown]
.long 0xC0020BD9, 0x00000000
.long 0xBEC00034
.long 0xBEC10035
.long 0xBEC300FF, 0x00020000
.long 0xBF128034
.long 0xBF840002
	;; [unrolled: 1-line block ×12, first 2 shown]
.long 0xBEC700FF, 0x00020000
.long 0xBF128036
.long 0xBF840002
	;; [unrolled: 1-line block ×8, first 2 shown]
.long 0x923D02FF, 0x00000100
.long 0x6810F63D
.long 0x923D0439
	;; [unrolled: 1-line block ×4, first 2 shown]
.long 0xE0501000, 0x80110408
.long 0x2410F682
.long 0xBF8C0F70
.long 0xBF8A0000
.long 0xD81A0000, 0x00000408
.long 0xBF820012
.long 0xB4B80004
.long 0xBF850010
.long 0x92464682
.long 0x923D02FF, 0x00000100
.long 0x6810F63D
	;; [unrolled: 5-line block ×4, first 2 shown]
.long 0x7E08022C
.long 0xBF8CC07F
.long 0xD1050004, 0x00000B04
.long 0xD1050004, 0x00005F04
.long 0xBF800000
.long 0x7E580504
	;; [unrolled: 1-line block ×4, first 2 shown]
.long 0x864A18FF, 0x000000FF
.long 0x804B0DC1
.long 0xBF094B02
	;; [unrolled: 1-line block ×5, first 2 shown]
.long 0x864A19FF, 0x000000FF
.long 0x804B0EC1
.long 0xBF094B03
	;; [unrolled: 1-line block ×22, first 2 shown]
.long 0x810584FF, 0x00019B58
.long 0x803E053E
.long 0x823F803F
.long 0xBF820030
.long 0xBEBE1C00
.long 0x810584FF, 0x00019B44
.long 0x803E053E
.long 0x823F803F
.long 0xBF82002A
.long 0xBEBE1C00
	;; [unrolled: 5-line block ×8, first 2 shown]
.long 0x810584FF, 0x00019D98
.long 0x803E053E
.long 0x823F803F
	;; [unrolled: 1-line block ×3, first 2 shown]
.long 0x924A02FF, 0x00000100
.long 0xD135000B, 0x00009500
.long 0x24161682
.long 0xBF8CC07F
	;; [unrolled: 1-line block ×3, first 2 shown]
.long 0xD9FE0000, 0x1000000B
.long 0x24180082
.long 0xE05C1000, 0x8010140C
.long 0xD1FE0009, 0x020A0103
	;; [unrolled: 1-line block ×66, first 2 shown]
.long 0xBF800001
.long 0x0A30302C
	;; [unrolled: 1-line block ×66, first 2 shown]
.long 0xD0CC0034, 0x00010042
.long 0xD1000014, 0x00D228F2
	;; [unrolled: 1-line block ×10, first 2 shown]
.long 0xBEC81E3E
.long 0x7E300304
.long 0x7E320305
.long 0x7E340306
.long 0x7E360307
.long 0xE07C1000, 0x80041809
.long 0xD0CC0034, 0x00010042
.long 0xD1000014, 0x00D228F2
.long 0xD1000015, 0x00D22AF2
.long 0xD3B1401C, 0x18023914
.long 0xD0CC0034, 0x00010042
.long 0xD1000016, 0x00D22CF2
.long 0xD1000017, 0x00D22EF2
.long 0xD3B1401E, 0x18023D16
.long 0xD3B24004, 0x18023910
.long 0xD3B24006, 0x18023D12
.long 0xBEC81E3E
.long 0x7E380304
.long 0x7E3A0305
.long 0x7E3C0306
.long 0x7E3E0307
.long 0x8E4A8224
.long 0x80104A10
.long 0x82118011
.long 0xE07C1000, 0x80041C09
.long 0xD0CC0034, 0x00010042
.long 0xD1000014, 0x00D228F2
.long 0xD1000015, 0x00D22AF2
.long 0xD3B14020, 0x18024114
.long 0xD0CC0034, 0x00010042
.long 0xD1000016, 0x00D22CF2
.long 0xD1000017, 0x00D22EF2
.long 0xD3B14022, 0x18024516
.long 0xD3B24004, 0x18024110
.long 0xD3B24006, 0x18024512
.long 0xBEC81E3E
.long 0x7E400304
.long 0x7E420305
	;; [unrolled: 19-line block ×15, first 2 shown]
.long 0x7EAC0306
.long 0x7EAE0307
	;; [unrolled: 1-line block ×5, first 2 shown]
.long 0xE07C1000, 0x80045409
.long 0xBF800000
.long 0x924A02FF, 0x00000100
.long 0xD135000B, 0x00009500
.long 0x24161682
.long 0xD9FE0000, 0x1000000B
.long 0xE05C1000, 0x8010140C
	;; [unrolled: 1-line block ×66, first 2 shown]
.long 0xBF800001
.long 0x0A30302C
	;; [unrolled: 1-line block ×66, first 2 shown]
.long 0xD0CC0034, 0x00010042
.long 0xD1000014, 0x00D228F2
.long 0xD1000015, 0x00D22AF2
.long 0xD3B14018, 0x18023114
.long 0xD0CC0034, 0x00010042
.long 0xD1000016, 0x00D22CF2
.long 0xD1000017, 0x00D22EF2
.long 0xD3B1401A, 0x18023516
.long 0xD3B24004, 0x18023110
.long 0xD3B24006, 0x18023512
.long 0xBEC81E3E
.long 0x7E300304
.long 0x7E320305
.long 0x7E340306
.long 0x7E360307
.long 0x924AB424
.long 0x80104A10
.long 0x82118011
.long 0xE07C1000, 0x80041809
.long 0xD0CC0034, 0x00010042
.long 0xD1000014, 0x00D228F2
.long 0xD1000015, 0x00D22AF2
.long 0xD3B1401C, 0x18023914
.long 0xD0CC0034, 0x00010042
.long 0xD1000016, 0x00D22CF2
.long 0xD1000017, 0x00D22EF2
.long 0xD3B1401E, 0x18023D16
.long 0xD3B24004, 0x18023910
.long 0xD3B24006, 0x18023D12
.long 0xBEC81E3E
.long 0x7E380304
.long 0x7E3A0305
.long 0x7E3C0306
.long 0x7E3E0307
.long 0x8E4A8224
.long 0x80104A10
.long 0x82118011
.long 0xE07C1000, 0x80041C09
	;; [unrolled: 19-line block ×16, first 2 shown]
.long 0xBF800000
.long 0x924A02FF, 0x00000100
.long 0xD135000B, 0x00009500
.long 0x24161682
.long 0xD9FE0000, 0x1000000B
.long 0xE05C1000, 0x8010140C
	;; [unrolled: 1-line block ×66, first 2 shown]
.long 0xBF800001
.long 0x0A30302C
	;; [unrolled: 1-line block ×66, first 2 shown]
.long 0xD0CC0034, 0x00010042
.long 0xD1000014, 0x00D228F2
.long 0xD1000015, 0x00D22AF2
.long 0xD3B14018, 0x18023114
.long 0xD0CC0034, 0x00010042
.long 0xD1000016, 0x00D22CF2
.long 0xD1000017, 0x00D22EF2
.long 0xD3B1401A, 0x18023516
.long 0xD3B24004, 0x18023110
.long 0xD3B24006, 0x18023512
.long 0xBEC81E3E
.long 0x7E300304
.long 0x7E320305
.long 0x7E340306
.long 0x7E360307
.long 0x924AB424
.long 0x80104A10
.long 0x82118011
.long 0xE07C1000, 0x80041809
.long 0xD0CC0034, 0x00010042
.long 0xD1000014, 0x00D228F2
.long 0xD1000015, 0x00D22AF2
.long 0xD3B1401C, 0x18023914
.long 0xD0CC0034, 0x00010042
.long 0xD1000016, 0x00D22CF2
.long 0xD1000017, 0x00D22EF2
.long 0xD3B1401E, 0x18023D16
.long 0xD3B24004, 0x18023910
.long 0xD3B24006, 0x18023D12
.long 0xBEC81E3E
.long 0x7E380304
.long 0x7E3A0305
.long 0x7E3C0306
.long 0x7E3E0307
.long 0x8E4A8224
.long 0x80104A10
.long 0x82118011
.long 0xE07C1000, 0x80041C09
	;; [unrolled: 19-line block ×16, first 2 shown]
.long 0xBF800000
.long 0x924A02FF, 0x00000100
.long 0xD135000B, 0x00009500
.long 0x24161682
.long 0xD9FE0000, 0x1000000B
.long 0xE05C1000, 0x8010140C
	;; [unrolled: 1-line block ×66, first 2 shown]
.long 0xBF800001
.long 0x0A30302C
	;; [unrolled: 1-line block ×66, first 2 shown]
.long 0xD0CC0034, 0x00010042
.long 0xD1000014, 0x00D228F2
.long 0xD1000015, 0x00D22AF2
.long 0xD3B14018, 0x18023114
.long 0xD0CC0034, 0x00010042
.long 0xD1000016, 0x00D22CF2
.long 0xD1000017, 0x00D22EF2
.long 0xD3B1401A, 0x18023516
.long 0xD3B24004, 0x18023110
.long 0xD3B24006, 0x18023512
.long 0xBEC81E3E
.long 0x7E300304
.long 0x7E320305
.long 0x7E340306
.long 0x7E360307
.long 0x924AB424
.long 0x80104A10
.long 0x82118011
.long 0xE07C1000, 0x80041809
.long 0xD0CC0034, 0x00010042
.long 0xD1000014, 0x00D228F2
.long 0xD1000015, 0x00D22AF2
.long 0xD3B1401C, 0x18023914
.long 0xD0CC0034, 0x00010042
.long 0xD1000016, 0x00D22CF2
.long 0xD1000017, 0x00D22EF2
.long 0xD3B1401E, 0x18023D16
.long 0xD3B24004, 0x18023910
.long 0xD3B24006, 0x18023D12
.long 0xBEC81E3E
.long 0x7E380304
.long 0x7E3A0305
.long 0x7E3C0306
.long 0x7E3E0307
.long 0x8E4A8224
.long 0x80104A10
.long 0x82118011
.long 0xE07C1000, 0x80041C09
	;; [unrolled: 19-line block ×16, first 2 shown]
.long 0xBF800000
.long 0xBF825D3C
	;; [unrolled: 1-line block ×19, first 2 shown]
.long 0x810584FF, 0x00017388
.long 0x803E053E
.long 0x823F803F
.long 0xBF820030
.long 0xBEBE1C00
.long 0x810584FF, 0x00017374
.long 0x803E053E
.long 0x823F803F
.long 0xBF82002A
.long 0xBEBE1C00
	;; [unrolled: 5-line block ×8, first 2 shown]
.long 0x810584FF, 0x000173A0
.long 0x803E053E
.long 0x823F803F
	;; [unrolled: 1-line block ×3, first 2 shown]
.long 0x7EA202FF, 0x80000000
.long 0xD0C9004A, 0x00003100
	;; [unrolled: 1-line block ×3, first 2 shown]
.long 0x86CE4E4A
.long 0x924A02FF, 0x00000100
.long 0xD135000A, 0x00009500
.long 0x24141482
.long 0xD100000A, 0x013A1551
.long 0xBF8CC07F
.long 0xBF8A0000
.long 0xD86C0000, 0x0C00000A
.long 0x24160082
.long 0xE0501000, 0x80100D0B
.long 0xD1FE0009, 0x020A0103
.long 0xD1000009, 0x013A1351
.long 0xD1196A04, 0x00010300
.long 0xD0C9004A, 0x00003104
.long 0xD0C9004E, 0x00003301
.long 0x86CE4E4A
.long 0x924A02FF, 0x00000100
.long 0xD1350010, 0x00009504
.long 0x24202082
.long 0xD1000010, 0x013A2151
.long 0xD86C0000, 0x12000010
.long 0x24220882
.long 0xE0501000, 0x80101311
.long 0xD1FE000F, 0x020A0903
.long 0xD100000F, 0x013A1F51
.long 0xD1196A04, 0x00010500
.long 0xD0C9004A, 0x00003104
.long 0xD0C9004E, 0x00003301
.long 0x86CE4E4A
.long 0x924A02FF, 0x00000100
.long 0xD1350016, 0x00009504
.long 0x242C2C82
.long 0xD1000016, 0x013A2D51
.long 0xD86C0000, 0x18000016
.long 0x242E0882
.long 0xE0501000, 0x80101917
.long 0xD1FE0015, 0x020A0903
.long 0xD1000015, 0x013A2B51
.long 0xD1196A04, 0x00010700
.long 0xD0C9004A, 0x00003104
.long 0xD0C9004E, 0x00003301
.long 0x86CE4E4A
.long 0x924A02FF, 0x00000100
.long 0xD135001C, 0x00009504
.long 0x24383882
.long 0xD100001C, 0x013A3951
.long 0xD86C0000, 0x1E00001C
.long 0x243A0882
.long 0xE0501000, 0x80101F1D
.long 0xD1FE001B, 0x020A0903
	;; [unrolled: 1-line block ×8, first 2 shown]
.long 0x86CE4E4A
.long 0x924A02FF, 0x00000100
.long 0xD1350022, 0x00009500
.long 0x24444482
.long 0xD1000022, 0x013A4551
.long 0x24460082
.long 0xD1FE0021, 0x020A0103
.long 0xD1000021, 0x013A4351
.long 0xD1196A04, 0x00010300
.long 0xD0C9004A, 0x00003104
.long 0xD0C9004E, 0x00003301
.long 0x86CE4E4A
.long 0x924A02FF, 0x00000100
.long 0xD1350026, 0x00009504
.long 0x244C4C82
.long 0xD1000026, 0x013A4D51
.long 0x244E0882
.long 0xD1FE0025, 0x020A0903
.long 0xD1000025, 0x013A4B51
.long 0xD1196A04, 0x00010500
.long 0xD0C9004A, 0x00003104
.long 0xD0C9004E, 0x00003301
.long 0x86CE4E4A
.long 0x924A02FF, 0x00000100
.long 0xD135002A, 0x00009504
.long 0x24545482
.long 0xD100002A, 0x013A5551
.long 0x24560882
.long 0xD1FE0029, 0x020A0903
.long 0xD1000029, 0x013A5351
.long 0xD1196A04, 0x00010700
.long 0xD0C9004A, 0x00003104
.long 0xD0C9004E, 0x00003301
.long 0x86CE4E4A
.long 0x924A02FF, 0x00000100
.long 0xD135002E, 0x00009504
.long 0x245C5C82
.long 0xD100002E, 0x013A5D51
.long 0x245E0882
.long 0xD1FE002D, 0x020A0903
.long 0xD100002D, 0x013A5B51
.long 0xD1196A01, 0x00010301
.long 0xD1340002, 0x00004D02
.long 0xD1340003, 0x00004903
.long 0xD0C9004A, 0x00003100
.long 0xD0C9004E, 0x00003301
.long 0x86CE4E4A
.long 0x924A02FF, 0x00000100
.long 0xD1350032, 0x00009500
.long 0x24646482
.long 0xD1000032, 0x013A6551
.long 0x24660082
.long 0xD1FE0031, 0x020A0103
.long 0xD1000031, 0x013A6351
.long 0xD1196A04, 0x00010300
.long 0xD0C9004A, 0x00003104
.long 0xD0C9004E, 0x00003301
.long 0x86CE4E4A
.long 0x924A02FF, 0x00000100
.long 0xD1350036, 0x00009504
.long 0x246C6C82
.long 0xD1000036, 0x013A6D51
.long 0x246E0882
.long 0xD1FE0035, 0x020A0903
.long 0xD1000035, 0x013A6B51
.long 0xD1196A04, 0x00010500
.long 0xD0C9004A, 0x00003104
.long 0xD0C9004E, 0x00003301
.long 0x86CE4E4A
.long 0x924A02FF, 0x00000100
.long 0xD135003A, 0x00009504
.long 0x24747482
.long 0xD100003A, 0x013A7551
.long 0x24760882
.long 0xD1FE0039, 0x020A0903
.long 0xD1000039, 0x013A7351
.long 0xD1196A04, 0x00010700
.long 0xD0C9004A, 0x00003104
.long 0xD0C9004E, 0x00003301
.long 0x86CE4E4A
.long 0x924A02FF, 0x00000100
.long 0xD135003E, 0x00009504
.long 0x247C7C82
.long 0xD100003E, 0x013A7D51
.long 0x247E0882
.long 0xD1FE003D, 0x020A0903
.long 0xD100003D, 0x013A7B51
.long 0xD1196A01, 0x00010301
.long 0xD1340002, 0x00004D02
.long 0xD1340003, 0x00004903
.long 0xD0C9004A, 0x00003100
.long 0xD0C9004E, 0x00003301
	;; [unrolled: 46-line block ×3, first 2 shown]
.long 0xD3D84028, 0x18000105
.long 0xD3D8402C, 0x18000109
	;; [unrolled: 1-line block ×11, first 2 shown]
.long 0xBF800001
.long 0x0A1C1C2C
	;; [unrolled: 1-line block ×18, first 2 shown]
.long 0xD0CC0034, 0x00010042
.long 0xD100000D, 0x00D21AF2
.long 0x0A1C1D0D
.long 0x02081D0C
.long 0xBEC81E3E
.long 0x7E1C0304
.long 0xE0701000, 0x80040E09
.long 0xD0CC0034, 0x00010042
.long 0xD1000013, 0x00D226F2
.long 0x0A282913
.long 0x02082912
.long 0xBEC81E3E
.long 0x7E280304
.long 0xE0701000, 0x8004140F
	;; [unrolled: 7-line block ×16, first 2 shown]
.long 0xBF800000
.long 0x7EA202FF, 0x80000000
.long 0xD1196A01, 0x00011B01
.long 0x924A8D26
.long 0xD1340002, 0x00009502
.long 0x924A8D24
.long 0xD1340003, 0x00009503
.long 0xD0C9004A, 0x00003100
.long 0xD0C9004E, 0x00003301
.long 0x86CE4E4A
.long 0x924A02FF, 0x00000100
.long 0xD135000A, 0x00009500
.long 0x24141482
.long 0xD100000A, 0x013A1551
.long 0xD86C0000, 0x0C00000A
.long 0x24160082
.long 0xE0501000, 0x80100D0B
.long 0xD1FE0009, 0x020A0103
.long 0xD1000009, 0x013A1351
.long 0xD1196A04, 0x00010300
.long 0xD0C9004A, 0x00003104
.long 0xD0C9004E, 0x00003301
.long 0x86CE4E4A
.long 0x924A02FF, 0x00000100
.long 0xD1350010, 0x00009504
.long 0x24202082
.long 0xD1000010, 0x013A2151
.long 0xD86C0000, 0x12000010
.long 0x24220882
.long 0xE0501000, 0x80101311
.long 0xD1FE000F, 0x020A0903
.long 0xD100000F, 0x013A1F51
	;; [unrolled: 13-line block ×4, first 2 shown]
.long 0xD1196A01, 0x00010301
.long 0xD1340002, 0x00004D02
.long 0xD1340003, 0x00004903
.long 0xD0C9004A, 0x00003100
.long 0xD0C9004E, 0x00003301
.long 0x86CE4E4A
.long 0x924A02FF, 0x00000100
.long 0xD1350022, 0x00009500
.long 0x24444482
.long 0xD1000022, 0x013A4551
.long 0x24460082
.long 0xD1FE0021, 0x020A0103
.long 0xD1000021, 0x013A4351
.long 0xD1196A04, 0x00010300
.long 0xD0C9004A, 0x00003104
.long 0xD0C9004E, 0x00003301
.long 0x86CE4E4A
.long 0x924A02FF, 0x00000100
.long 0xD1350026, 0x00009504
.long 0x244C4C82
.long 0xD1000026, 0x013A4D51
.long 0x244E0882
.long 0xD1FE0025, 0x020A0903
.long 0xD1000025, 0x013A4B51
.long 0xD1196A04, 0x00010500
.long 0xD0C9004A, 0x00003104
.long 0xD0C9004E, 0x00003301
.long 0x86CE4E4A
.long 0x924A02FF, 0x00000100
.long 0xD135002A, 0x00009504
.long 0x24545482
.long 0xD100002A, 0x013A5551
.long 0x24560882
.long 0xD1FE0029, 0x020A0903
.long 0xD1000029, 0x013A5351
.long 0xD1196A04, 0x00010700
.long 0xD0C9004A, 0x00003104
.long 0xD0C9004E, 0x00003301
.long 0x86CE4E4A
.long 0x924A02FF, 0x00000100
.long 0xD135002E, 0x00009504
.long 0x245C5C82
.long 0xD100002E, 0x013A5D51
.long 0x245E0882
.long 0xD1FE002D, 0x020A0903
.long 0xD100002D, 0x013A5B51
.long 0xD1196A01, 0x00010301
.long 0xD1340002, 0x00004D02
.long 0xD1340003, 0x00004903
.long 0xD0C9004A, 0x00003100
.long 0xD0C9004E, 0x00003301
.long 0x86CE4E4A
.long 0x924A02FF, 0x00000100
.long 0xD1350032, 0x00009500
.long 0x24646482
.long 0xD1000032, 0x013A6551
.long 0x24660082
.long 0xD1FE0031, 0x020A0103
.long 0xD1000031, 0x013A6351
.long 0xD1196A04, 0x00010300
.long 0xD0C9004A, 0x00003104
.long 0xD0C9004E, 0x00003301
.long 0x86CE4E4A
.long 0x924A02FF, 0x00000100
.long 0xD1350036, 0x00009504
.long 0x246C6C82
.long 0xD1000036, 0x013A6D51
.long 0x246E0882
.long 0xD1FE0035, 0x020A0903
.long 0xD1000035, 0x013A6B51
.long 0xD1196A04, 0x00010500
.long 0xD0C9004A, 0x00003104
.long 0xD0C9004E, 0x00003301
.long 0x86CE4E4A
.long 0x924A02FF, 0x00000100
.long 0xD135003A, 0x00009504
.long 0x24747482
.long 0xD100003A, 0x013A7551
.long 0x24760882
.long 0xD1FE0039, 0x020A0903
.long 0xD1000039, 0x013A7351
.long 0xD1196A04, 0x00010700
.long 0xD0C9004A, 0x00003104
.long 0xD0C9004E, 0x00003301
.long 0x86CE4E4A
.long 0x924A02FF, 0x00000100
.long 0xD135003E, 0x00009504
.long 0x247C7C82
.long 0xD100003E, 0x013A7D51
.long 0x247E0882
.long 0xD1FE003D, 0x020A0903
.long 0xD100003D, 0x013A7B51
	;; [unrolled: 46-line block ×3, first 2 shown]
.long 0xD3D8400E, 0x18000110
.long 0xD3D84014, 0x18000114
	;; [unrolled: 1-line block ×16, first 2 shown]
.long 0xBF800001
.long 0x0A1C1C2C
	;; [unrolled: 1-line block ×18, first 2 shown]
.long 0xD0CC0034, 0x00010042
.long 0xD100000D, 0x00D21AF2
.long 0x0A1C1D0D
.long 0x02081D0C
.long 0xBEC81E3E
.long 0x7E1C0304
.long 0xE0701000, 0x80040E09
.long 0xD0CC0034, 0x00010042
.long 0xD1000013, 0x00D226F2
.long 0x0A282913
.long 0x02082912
.long 0xBEC81E3E
.long 0x7E280304
.long 0xE0701000, 0x8004140F
	;; [unrolled: 7-line block ×16, first 2 shown]
.long 0xBF800000
.long 0x7EA202FF, 0x80000000
.long 0xD1196A01, 0x00011B01
.long 0x924A8D26
.long 0xD1340002, 0x00009502
.long 0x924A8D24
.long 0xD1340003, 0x00009503
.long 0xD0C9004A, 0x00003100
.long 0xD0C9004E, 0x00003301
.long 0x86CE4E4A
.long 0x924A02FF, 0x00000100
.long 0xD135000A, 0x00009500
.long 0x24141482
.long 0xD100000A, 0x013A1551
.long 0xD86C0000, 0x0C00000A
.long 0x24160082
.long 0xE0501000, 0x80100D0B
.long 0xD1FE0009, 0x020A0103
.long 0xD1000009, 0x013A1351
.long 0xD1196A04, 0x00010300
.long 0xD0C9004A, 0x00003104
.long 0xD0C9004E, 0x00003301
.long 0x86CE4E4A
.long 0x924A02FF, 0x00000100
.long 0xD1350010, 0x00009504
.long 0x24202082
.long 0xD1000010, 0x013A2151
.long 0xD86C0000, 0x12000010
.long 0x24220882
.long 0xE0501000, 0x80101311
.long 0xD1FE000F, 0x020A0903
.long 0xD100000F, 0x013A1F51
	;; [unrolled: 13-line block ×4, first 2 shown]
.long 0xD1196A01, 0x00010301
.long 0xD1340002, 0x00004D02
.long 0xD1340003, 0x00004903
.long 0xD0C9004A, 0x00003100
.long 0xD0C9004E, 0x00003301
.long 0x86CE4E4A
.long 0x924A02FF, 0x00000100
.long 0xD1350022, 0x00009500
.long 0x24444482
.long 0xD1000022, 0x013A4551
.long 0x24460082
.long 0xD1FE0021, 0x020A0103
.long 0xD1000021, 0x013A4351
.long 0xD1196A04, 0x00010300
.long 0xD0C9004A, 0x00003104
.long 0xD0C9004E, 0x00003301
.long 0x86CE4E4A
.long 0x924A02FF, 0x00000100
.long 0xD1350026, 0x00009504
.long 0x244C4C82
.long 0xD1000026, 0x013A4D51
.long 0x244E0882
.long 0xD1FE0025, 0x020A0903
.long 0xD1000025, 0x013A4B51
.long 0xD1196A04, 0x00010500
.long 0xD0C9004A, 0x00003104
.long 0xD0C9004E, 0x00003301
.long 0x86CE4E4A
.long 0x924A02FF, 0x00000100
.long 0xD135002A, 0x00009504
.long 0x24545482
.long 0xD100002A, 0x013A5551
.long 0x24560882
.long 0xD1FE0029, 0x020A0903
.long 0xD1000029, 0x013A5351
.long 0xD1196A04, 0x00010700
.long 0xD0C9004A, 0x00003104
.long 0xD0C9004E, 0x00003301
.long 0x86CE4E4A
.long 0x924A02FF, 0x00000100
.long 0xD135002E, 0x00009504
.long 0x245C5C82
.long 0xD100002E, 0x013A5D51
.long 0x245E0882
.long 0xD1FE002D, 0x020A0903
.long 0xD100002D, 0x013A5B51
.long 0xD1196A01, 0x00010301
.long 0xD1340002, 0x00004D02
.long 0xD1340003, 0x00004903
.long 0xD0C9004A, 0x00003100
.long 0xD0C9004E, 0x00003301
.long 0x86CE4E4A
.long 0x924A02FF, 0x00000100
.long 0xD1350032, 0x00009500
.long 0x24646482
.long 0xD1000032, 0x013A6551
.long 0x24660082
.long 0xD1FE0031, 0x020A0103
.long 0xD1000031, 0x013A6351
.long 0xD1196A04, 0x00010300
.long 0xD0C9004A, 0x00003104
.long 0xD0C9004E, 0x00003301
.long 0x86CE4E4A
.long 0x924A02FF, 0x00000100
.long 0xD1350036, 0x00009504
.long 0x246C6C82
.long 0xD1000036, 0x013A6D51
.long 0x246E0882
.long 0xD1FE0035, 0x020A0903
.long 0xD1000035, 0x013A6B51
.long 0xD1196A04, 0x00010500
.long 0xD0C9004A, 0x00003104
.long 0xD0C9004E, 0x00003301
.long 0x86CE4E4A
.long 0x924A02FF, 0x00000100
.long 0xD135003A, 0x00009504
.long 0x24747482
.long 0xD100003A, 0x013A7551
.long 0x24760882
.long 0xD1FE0039, 0x020A0903
.long 0xD1000039, 0x013A7351
.long 0xD1196A04, 0x00010700
.long 0xD0C9004A, 0x00003104
.long 0xD0C9004E, 0x00003301
.long 0x86CE4E4A
.long 0x924A02FF, 0x00000100
.long 0xD135003E, 0x00009504
.long 0x247C7C82
.long 0xD100003E, 0x013A7D51
.long 0x247E0882
.long 0xD1FE003D, 0x020A0903
.long 0xD100003D, 0x013A7B51
	;; [unrolled: 46-line block ×3, first 2 shown]
.long 0xD3D8400E, 0x18000120
.long 0xD3D84014, 0x18000124
	;; [unrolled: 1-line block ×16, first 2 shown]
.long 0xBF800001
.long 0x0A1C1C2C
.long 0x0A28282C
.long 0x0A34342C
.long 0x0A40402C
.long 0x0A48482C
.long 0x0A50502C
.long 0x0A58582C
.long 0x0A60602C
.long 0x0A68682C
.long 0x0A70702C
.long 0x0A78782C
.long 0x0A80802C
.long 0x0A88882C
.long 0x0A90902C
.long 0x0A98982C
.long 0x0AA0A02C
.long 0xBF8C0000
.long 0xD0CC0034, 0x00010042
.long 0xD100000D, 0x00D21AF2
.long 0x0A1C1D0D
.long 0x02081D0C
.long 0xBEC81E3E
.long 0x7E1C0304
.long 0xE0701000, 0x80040E09
.long 0xD0CC0034, 0x00010042
.long 0xD1000013, 0x00D226F2
.long 0x0A282913
.long 0x02082912
.long 0xBEC81E3E
.long 0x7E280304
.long 0xE0701000, 0x8004140F
	;; [unrolled: 7-line block ×16, first 2 shown]
.long 0xBF800000
.long 0x7EA202FF, 0x80000000
.long 0xD1196A01, 0x00011B01
.long 0x924A8D26
.long 0xD1340002, 0x00009502
.long 0x924A8D24
.long 0xD1340003, 0x00009503
.long 0xD0C9004A, 0x00003100
.long 0xD0C9004E, 0x00003301
.long 0x86CE4E4A
.long 0x924A02FF, 0x00000100
.long 0xD135000A, 0x00009500
.long 0x24141482
.long 0xD100000A, 0x013A1551
.long 0xD86C0000, 0x0C00000A
.long 0x24160082
.long 0xE0501000, 0x80100D0B
.long 0xD1FE0009, 0x020A0103
.long 0xD1000009, 0x013A1351
.long 0xD1196A04, 0x00010300
.long 0xD0C9004A, 0x00003104
.long 0xD0C9004E, 0x00003301
.long 0x86CE4E4A
.long 0x924A02FF, 0x00000100
.long 0xD1350010, 0x00009504
.long 0x24202082
.long 0xD1000010, 0x013A2151
.long 0xD86C0000, 0x12000010
.long 0x24220882
.long 0xE0501000, 0x80101311
.long 0xD1FE000F, 0x020A0903
.long 0xD100000F, 0x013A1F51
	;; [unrolled: 13-line block ×4, first 2 shown]
.long 0xD1196A01, 0x00010301
.long 0xD1340002, 0x00004D02
.long 0xD1340003, 0x00004903
.long 0xD0C9004A, 0x00003100
.long 0xD0C9004E, 0x00003301
.long 0x86CE4E4A
.long 0x924A02FF, 0x00000100
.long 0xD1350022, 0x00009500
.long 0x24444482
.long 0xD1000022, 0x013A4551
.long 0x24460082
.long 0xD1FE0021, 0x020A0103
.long 0xD1000021, 0x013A4351
.long 0xD1196A04, 0x00010300
.long 0xD0C9004A, 0x00003104
.long 0xD0C9004E, 0x00003301
.long 0x86CE4E4A
.long 0x924A02FF, 0x00000100
.long 0xD1350026, 0x00009504
.long 0x244C4C82
.long 0xD1000026, 0x013A4D51
.long 0x244E0882
.long 0xD1FE0025, 0x020A0903
.long 0xD1000025, 0x013A4B51
.long 0xD1196A04, 0x00010500
.long 0xD0C9004A, 0x00003104
.long 0xD0C9004E, 0x00003301
.long 0x86CE4E4A
.long 0x924A02FF, 0x00000100
.long 0xD135002A, 0x00009504
.long 0x24545482
.long 0xD100002A, 0x013A5551
.long 0x24560882
.long 0xD1FE0029, 0x020A0903
.long 0xD1000029, 0x013A5351
.long 0xD1196A04, 0x00010700
.long 0xD0C9004A, 0x00003104
.long 0xD0C9004E, 0x00003301
.long 0x86CE4E4A
.long 0x924A02FF, 0x00000100
.long 0xD135002E, 0x00009504
.long 0x245C5C82
.long 0xD100002E, 0x013A5D51
.long 0x245E0882
.long 0xD1FE002D, 0x020A0903
.long 0xD100002D, 0x013A5B51
.long 0xD1196A01, 0x00010301
.long 0xD1340002, 0x00004D02
.long 0xD1340003, 0x00004903
.long 0xD0C9004A, 0x00003100
.long 0xD0C9004E, 0x00003301
.long 0x86CE4E4A
.long 0x924A02FF, 0x00000100
.long 0xD1350032, 0x00009500
.long 0x24646482
.long 0xD1000032, 0x013A6551
.long 0x24660082
.long 0xD1FE0031, 0x020A0103
.long 0xD1000031, 0x013A6351
.long 0xD1196A04, 0x00010300
.long 0xD0C9004A, 0x00003104
.long 0xD0C9004E, 0x00003301
.long 0x86CE4E4A
.long 0x924A02FF, 0x00000100
.long 0xD1350036, 0x00009504
.long 0x246C6C82
.long 0xD1000036, 0x013A6D51
.long 0x246E0882
.long 0xD1FE0035, 0x020A0903
.long 0xD1000035, 0x013A6B51
.long 0xD1196A04, 0x00010500
.long 0xD0C9004A, 0x00003104
.long 0xD0C9004E, 0x00003301
.long 0x86CE4E4A
.long 0x924A02FF, 0x00000100
.long 0xD135003A, 0x00009504
.long 0x24747482
.long 0xD100003A, 0x013A7551
.long 0x24760882
.long 0xD1FE0039, 0x020A0903
.long 0xD1000039, 0x013A7351
.long 0xD1196A04, 0x00010700
.long 0xD0C9004A, 0x00003104
.long 0xD0C9004E, 0x00003301
.long 0x86CE4E4A
.long 0x924A02FF, 0x00000100
.long 0xD135003E, 0x00009504
.long 0x247C7C82
.long 0xD100003E, 0x013A7D51
.long 0x247E0882
.long 0xD1FE003D, 0x020A0903
.long 0xD100003D, 0x013A7B51
	;; [unrolled: 46-line block ×3, first 2 shown]
.long 0xD3D8400E, 0x18000130
.long 0xD3D84014, 0x18000134
	;; [unrolled: 1-line block ×16, first 2 shown]
.long 0xBF800001
.long 0x0A1C1C2C
	;; [unrolled: 1-line block ×18, first 2 shown]
.long 0xD0CC0034, 0x00010042
.long 0xD100000D, 0x00D21AF2
.long 0x0A1C1D0D
.long 0x02081D0C
.long 0xBEC81E3E
.long 0x7E1C0304
.long 0xE0701000, 0x80040E09
.long 0xD0CC0034, 0x00010042
.long 0xD1000013, 0x00D226F2
.long 0x0A282913
.long 0x02082912
.long 0xBEC81E3E
.long 0x7E280304
.long 0xE0701000, 0x8004140F
.long 0xD0CC0034, 0x00010042
.long 0xD1000019, 0x00D232F2
.long 0x0A343519
.long 0x02083518
.long 0xBEC81E3E
.long 0x7E340304
.long 0xE0701000, 0x80041A15
.long 0xD0CC0034, 0x00010042
.long 0xD100001F, 0x00D23EF2
.long 0x0A40411F
.long 0x0208411E
.long 0xBEC81E3E
.long 0x7E400304
.long 0xE0701000, 0x8004201B
.long 0xD0CC0034, 0x00010042
.long 0xD100000D, 0x00D21AF2
.long 0x0A48490D
.long 0x0208490C
.long 0xBEC81E3E
.long 0x7E480304
.long 0xE0701000, 0x80042421
.long 0xD0CC0034, 0x00010042
.long 0xD1000013, 0x00D226F2
.long 0x0A505113
.long 0x02085112
.long 0xBEC81E3E
.long 0x7E500304
.long 0xE0701000, 0x80042825
.long 0xD0CC0034, 0x00010042
.long 0xD1000019, 0x00D232F2
.long 0x0A585919
.long 0x02085918
.long 0xBEC81E3E
.long 0x7E580304
.long 0xE0701000, 0x80042C29
.long 0xD0CC0034, 0x00010042
.long 0xD100001F, 0x00D23EF2
.long 0x0A60611F
.long 0x0208611E
.long 0xBEC81E3E
.long 0x7E600304
.long 0xE0701000, 0x8004302D
.long 0xD0CC0034, 0x00010042
.long 0xD100000D, 0x00D21AF2
.long 0x0A68690D
.long 0x0208690C
.long 0xBEC81E3E
.long 0x7E680304
.long 0xE0701000, 0x80043431
.long 0xD0CC0034, 0x00010042
.long 0xD1000013, 0x00D226F2
.long 0x0A707113
.long 0x02087112
.long 0xBEC81E3E
.long 0x7E700304
.long 0xE0701000, 0x80043835
.long 0xD0CC0034, 0x00010042
.long 0xD1000019, 0x00D232F2
.long 0x0A787919
.long 0x02087918
.long 0xBEC81E3E
.long 0x7E780304
.long 0xE0701000, 0x80043C39
.long 0xD0CC0034, 0x00010042
.long 0xD100001F, 0x00D23EF2
.long 0x0A80811F
.long 0x0208811E
.long 0xBEC81E3E
.long 0x7E800304
.long 0xE0701000, 0x8004403D
.long 0xD0CC0034, 0x00010042
.long 0xD100000D, 0x00D21AF2
.long 0x0A88890D
.long 0x0208890C
.long 0xBEC81E3E
.long 0x7E880304
.long 0xE0701000, 0x80044441
.long 0xD0CC0034, 0x00010042
.long 0xD1000013, 0x00D226F2
.long 0x0A909113
.long 0x02089112
.long 0xBEC81E3E
.long 0x7E900304
.long 0xE0701000, 0x80044845
.long 0xD0CC0034, 0x00010042
.long 0xD1000019, 0x00D232F2
.long 0x0A989919
.long 0x02089918
.long 0xBEC81E3E
.long 0x7E980304
.long 0xE0701000, 0x80044C49
.long 0xD0CC0034, 0x00010042
.long 0xD100001F, 0x00D23EF2
.long 0x0AA0A11F
.long 0x0208A11E
.long 0xBEC81E3E
.long 0x7EA00304
.long 0xE0701000, 0x8004504D
.long 0xBF800000
.long 0x7EA202FF, 0x80000000
.long 0xD1196A01, 0x00011B01
.long 0x924A8D26
.long 0xD1340002, 0x00009502
.long 0x924A8D24
.long 0xD1340003, 0x00009503
.long 0xD0C9004A, 0x00003100
.long 0xD0C9004E, 0x00003301
.long 0x86CE4E4A
.long 0x924A02FF, 0x00000100
.long 0xD135000A, 0x00009500
.long 0x24141482
.long 0xD100000A, 0x013A1551
.long 0xD86C0000, 0x0C00000A
.long 0x24160082
.long 0xE0501000, 0x80100D0B
.long 0xD1FE0009, 0x020A0103
.long 0xD1000009, 0x013A1351
.long 0xD1196A04, 0x00010300
.long 0xD0C9004A, 0x00003104
.long 0xD0C9004E, 0x00003301
.long 0x86CE4E4A
.long 0x924A02FF, 0x00000100
.long 0xD1350010, 0x00009504
.long 0x24202082
.long 0xD1000010, 0x013A2151
.long 0xD86C0000, 0x12000010
.long 0x24220882
.long 0xE0501000, 0x80101311
.long 0xD1FE000F, 0x020A0903
.long 0xD100000F, 0x013A1F51
	;; [unrolled: 13-line block ×4, first 2 shown]
.long 0xD1196A01, 0x00010301
.long 0xD1340002, 0x00004D02
.long 0xD1340003, 0x00004903
.long 0xD0C9004A, 0x00003100
.long 0xD0C9004E, 0x00003301
.long 0x86CE4E4A
.long 0x924A02FF, 0x00000100
.long 0xD1350022, 0x00009500
.long 0x24444482
.long 0xD1000022, 0x013A4551
.long 0x24460082
.long 0xD1FE0021, 0x020A0103
.long 0xD1000021, 0x013A4351
.long 0xD1196A04, 0x00010300
.long 0xD0C9004A, 0x00003104
.long 0xD0C9004E, 0x00003301
.long 0x86CE4E4A
.long 0x924A02FF, 0x00000100
.long 0xD1350026, 0x00009504
.long 0x244C4C82
.long 0xD1000026, 0x013A4D51
.long 0x244E0882
.long 0xD1FE0025, 0x020A0903
.long 0xD1000025, 0x013A4B51
.long 0xD1196A04, 0x00010500
.long 0xD0C9004A, 0x00003104
.long 0xD0C9004E, 0x00003301
.long 0x86CE4E4A
.long 0x924A02FF, 0x00000100
.long 0xD135002A, 0x00009504
.long 0x24545482
.long 0xD100002A, 0x013A5551
.long 0x24560882
.long 0xD1FE0029, 0x020A0903
.long 0xD1000029, 0x013A5351
.long 0xD1196A04, 0x00010700
.long 0xD0C9004A, 0x00003104
.long 0xD0C9004E, 0x00003301
.long 0x86CE4E4A
.long 0x924A02FF, 0x00000100
.long 0xD135002E, 0x00009504
.long 0x245C5C82
.long 0xD100002E, 0x013A5D51
.long 0x245E0882
.long 0xD1FE002D, 0x020A0903
.long 0xD100002D, 0x013A5B51
.long 0xD1196A01, 0x00010301
.long 0xD1340002, 0x00004D02
.long 0xD1340003, 0x00004903
.long 0xD0C9004A, 0x00003100
.long 0xD0C9004E, 0x00003301
.long 0x86CE4E4A
.long 0x924A02FF, 0x00000100
.long 0xD1350032, 0x00009500
.long 0x24646482
.long 0xD1000032, 0x013A6551
.long 0x24660082
.long 0xD1FE0031, 0x020A0103
.long 0xD1000031, 0x013A6351
.long 0xD1196A04, 0x00010300
.long 0xD0C9004A, 0x00003104
.long 0xD0C9004E, 0x00003301
.long 0x86CE4E4A
.long 0x924A02FF, 0x00000100
.long 0xD1350036, 0x00009504
.long 0x246C6C82
.long 0xD1000036, 0x013A6D51
.long 0x246E0882
.long 0xD1FE0035, 0x020A0903
.long 0xD1000035, 0x013A6B51
.long 0xD1196A04, 0x00010500
.long 0xD0C9004A, 0x00003104
.long 0xD0C9004E, 0x00003301
.long 0x86CE4E4A
.long 0x924A02FF, 0x00000100
.long 0xD135003A, 0x00009504
.long 0x24747482
.long 0xD100003A, 0x013A7551
.long 0x24760882
.long 0xD1FE0039, 0x020A0903
.long 0xD1000039, 0x013A7351
.long 0xD1196A04, 0x00010700
.long 0xD0C9004A, 0x00003104
.long 0xD0C9004E, 0x00003301
.long 0x86CE4E4A
.long 0x924A02FF, 0x00000100
.long 0xD135003E, 0x00009504
.long 0x247C7C82
.long 0xD100003E, 0x013A7D51
.long 0x247E0882
.long 0xD1FE003D, 0x020A0903
.long 0xD100003D, 0x013A7B51
	;; [unrolled: 46-line block ×3, first 2 shown]
.long 0xD3D8400E, 0x18000140
.long 0xD3D84014, 0x18000144
	;; [unrolled: 1-line block ×16, first 2 shown]
.long 0xBF800001
.long 0x0A1C1C2C
	;; [unrolled: 1-line block ×18, first 2 shown]
.long 0xD0CC0034, 0x00010042
.long 0xD100000D, 0x00D21AF2
.long 0x0A1C1D0D
.long 0x02081D0C
.long 0xBEC81E3E
.long 0x7E1C0304
.long 0xE0701000, 0x80040E09
.long 0xD0CC0034, 0x00010042
.long 0xD1000013, 0x00D226F2
.long 0x0A282913
.long 0x02082912
.long 0xBEC81E3E
.long 0x7E280304
.long 0xE0701000, 0x8004140F
.long 0xD0CC0034, 0x00010042
.long 0xD1000019, 0x00D232F2
.long 0x0A343519
.long 0x02083518
.long 0xBEC81E3E
.long 0x7E340304
.long 0xE0701000, 0x80041A15
.long 0xD0CC0034, 0x00010042
.long 0xD100001F, 0x00D23EF2
.long 0x0A40411F
.long 0x0208411E
.long 0xBEC81E3E
.long 0x7E400304
.long 0xE0701000, 0x8004201B
.long 0xD0CC0034, 0x00010042
.long 0xD100000D, 0x00D21AF2
.long 0x0A48490D
.long 0x0208490C
.long 0xBEC81E3E
.long 0x7E480304
.long 0xE0701000, 0x80042421
.long 0xD0CC0034, 0x00010042
.long 0xD1000013, 0x00D226F2
.long 0x0A505113
.long 0x02085112
.long 0xBEC81E3E
.long 0x7E500304
.long 0xE0701000, 0x80042825
.long 0xD0CC0034, 0x00010042
.long 0xD1000019, 0x00D232F2
.long 0x0A585919
.long 0x02085918
.long 0xBEC81E3E
.long 0x7E580304
.long 0xE0701000, 0x80042C29
.long 0xD0CC0034, 0x00010042
.long 0xD100001F, 0x00D23EF2
.long 0x0A60611F
.long 0x0208611E
.long 0xBEC81E3E
.long 0x7E600304
.long 0xE0701000, 0x8004302D
.long 0xD0CC0034, 0x00010042
.long 0xD100000D, 0x00D21AF2
.long 0x0A68690D
.long 0x0208690C
.long 0xBEC81E3E
.long 0x7E680304
.long 0xE0701000, 0x80043431
.long 0xD0CC0034, 0x00010042
.long 0xD1000013, 0x00D226F2
.long 0x0A707113
.long 0x02087112
.long 0xBEC81E3E
.long 0x7E700304
.long 0xE0701000, 0x80043835
.long 0xD0CC0034, 0x00010042
.long 0xD1000019, 0x00D232F2
.long 0x0A787919
.long 0x02087918
.long 0xBEC81E3E
.long 0x7E780304
.long 0xE0701000, 0x80043C39
.long 0xD0CC0034, 0x00010042
.long 0xD100001F, 0x00D23EF2
.long 0x0A80811F
.long 0x0208811E
.long 0xBEC81E3E
.long 0x7E800304
.long 0xE0701000, 0x8004403D
.long 0xD0CC0034, 0x00010042
.long 0xD100000D, 0x00D21AF2
.long 0x0A88890D
.long 0x0208890C
.long 0xBEC81E3E
.long 0x7E880304
.long 0xE0701000, 0x80044441
.long 0xD0CC0034, 0x00010042
.long 0xD1000013, 0x00D226F2
.long 0x0A909113
.long 0x02089112
.long 0xBEC81E3E
.long 0x7E900304
.long 0xE0701000, 0x80044845
.long 0xD0CC0034, 0x00010042
.long 0xD1000019, 0x00D232F2
.long 0x0A989919
.long 0x02089918
.long 0xBEC81E3E
.long 0x7E980304
.long 0xE0701000, 0x80044C49
.long 0xD0CC0034, 0x00010042
.long 0xD100001F, 0x00D23EF2
.long 0x0AA0A11F
.long 0x0208A11E
.long 0xBEC81E3E
.long 0x7EA00304
.long 0xE0701000, 0x8004504D
.long 0xBF800000
.long 0x7EA202FF, 0x80000000
.long 0xD1196A01, 0x00011B01
.long 0x924A8D26
.long 0xD1340002, 0x00009502
.long 0x924A8D24
.long 0xD1340003, 0x00009503
.long 0xD0C9004A, 0x00003100
.long 0xD0C9004E, 0x00003301
.long 0x86CE4E4A
.long 0x924A02FF, 0x00000100
.long 0xD135000A, 0x00009500
.long 0x24141482
.long 0xD100000A, 0x013A1551
.long 0xD86C0000, 0x0C00000A
.long 0x24160082
.long 0xE0501000, 0x80100D0B
.long 0xD1FE0009, 0x020A0103
.long 0xD1000009, 0x013A1351
.long 0xD1196A04, 0x00010300
.long 0xD0C9004A, 0x00003104
.long 0xD0C9004E, 0x00003301
.long 0x86CE4E4A
.long 0x924A02FF, 0x00000100
.long 0xD1350010, 0x00009504
.long 0x24202082
.long 0xD1000010, 0x013A2151
.long 0xD86C0000, 0x12000010
.long 0x24220882
.long 0xE0501000, 0x80101311
.long 0xD1FE000F, 0x020A0903
.long 0xD100000F, 0x013A1F51
	;; [unrolled: 13-line block ×4, first 2 shown]
.long 0xD1196A01, 0x00010301
.long 0xD1340002, 0x00004D02
.long 0xD1340003, 0x00004903
.long 0xD0C9004A, 0x00003100
.long 0xD0C9004E, 0x00003301
.long 0x86CE4E4A
.long 0x924A02FF, 0x00000100
.long 0xD1350022, 0x00009500
.long 0x24444482
.long 0xD1000022, 0x013A4551
.long 0x24460082
.long 0xD1FE0021, 0x020A0103
.long 0xD1000021, 0x013A4351
.long 0xD1196A04, 0x00010300
.long 0xD0C9004A, 0x00003104
.long 0xD0C9004E, 0x00003301
.long 0x86CE4E4A
.long 0x924A02FF, 0x00000100
.long 0xD1350026, 0x00009504
.long 0x244C4C82
.long 0xD1000026, 0x013A4D51
.long 0x244E0882
.long 0xD1FE0025, 0x020A0903
.long 0xD1000025, 0x013A4B51
.long 0xD1196A04, 0x00010500
.long 0xD0C9004A, 0x00003104
.long 0xD0C9004E, 0x00003301
.long 0x86CE4E4A
.long 0x924A02FF, 0x00000100
.long 0xD135002A, 0x00009504
.long 0x24545482
.long 0xD100002A, 0x013A5551
.long 0x24560882
.long 0xD1FE0029, 0x020A0903
.long 0xD1000029, 0x013A5351
.long 0xD1196A04, 0x00010700
.long 0xD0C9004A, 0x00003104
.long 0xD0C9004E, 0x00003301
.long 0x86CE4E4A
.long 0x924A02FF, 0x00000100
.long 0xD135002E, 0x00009504
.long 0x245C5C82
.long 0xD100002E, 0x013A5D51
.long 0x245E0882
.long 0xD1FE002D, 0x020A0903
.long 0xD100002D, 0x013A5B51
.long 0xD1196A01, 0x00010301
.long 0xD1340002, 0x00004D02
.long 0xD1340003, 0x00004903
.long 0xD0C9004A, 0x00003100
.long 0xD0C9004E, 0x00003301
.long 0x86CE4E4A
.long 0x924A02FF, 0x00000100
.long 0xD1350032, 0x00009500
.long 0x24646482
.long 0xD1000032, 0x013A6551
.long 0x24660082
.long 0xD1FE0031, 0x020A0103
.long 0xD1000031, 0x013A6351
.long 0xD1196A04, 0x00010300
.long 0xD0C9004A, 0x00003104
.long 0xD0C9004E, 0x00003301
.long 0x86CE4E4A
.long 0x924A02FF, 0x00000100
.long 0xD1350036, 0x00009504
.long 0x246C6C82
.long 0xD1000036, 0x013A6D51
.long 0x246E0882
.long 0xD1FE0035, 0x020A0903
.long 0xD1000035, 0x013A6B51
.long 0xD1196A04, 0x00010500
.long 0xD0C9004A, 0x00003104
.long 0xD0C9004E, 0x00003301
.long 0x86CE4E4A
.long 0x924A02FF, 0x00000100
.long 0xD135003A, 0x00009504
.long 0x24747482
.long 0xD100003A, 0x013A7551
.long 0x24760882
.long 0xD1FE0039, 0x020A0903
.long 0xD1000039, 0x013A7351
.long 0xD1196A04, 0x00010700
.long 0xD0C9004A, 0x00003104
.long 0xD0C9004E, 0x00003301
.long 0x86CE4E4A
.long 0x924A02FF, 0x00000100
.long 0xD135003E, 0x00009504
.long 0x247C7C82
.long 0xD100003E, 0x013A7D51
.long 0x247E0882
.long 0xD1FE003D, 0x020A0903
.long 0xD100003D, 0x013A7B51
	;; [unrolled: 46-line block ×3, first 2 shown]
.long 0xD3D8400E, 0x18000150
.long 0xD3D84014, 0x18000154
	;; [unrolled: 1-line block ×16, first 2 shown]
.long 0xBF800001
.long 0x0A1C1C2C
	;; [unrolled: 1-line block ×18, first 2 shown]
.long 0xD0CC0034, 0x00010042
.long 0xD100000D, 0x00D21AF2
.long 0x0A1C1D0D
.long 0x02081D0C
.long 0xBEC81E3E
.long 0x7E1C0304
.long 0xE0701000, 0x80040E09
.long 0xD0CC0034, 0x00010042
.long 0xD1000013, 0x00D226F2
.long 0x0A282913
.long 0x02082912
.long 0xBEC81E3E
.long 0x7E280304
.long 0xE0701000, 0x8004140F
	;; [unrolled: 7-line block ×16, first 2 shown]
.long 0xBF800000
.long 0x7EA202FF, 0x80000000
.long 0xD1196A01, 0x00011B01
.long 0x924A8D26
.long 0xD1340002, 0x00009502
.long 0x924A8D24
.long 0xD1340003, 0x00009503
.long 0xD0C9004A, 0x00003100
.long 0xD0C9004E, 0x00003301
.long 0x86CE4E4A
.long 0x924A02FF, 0x00000100
.long 0xD135000A, 0x00009500
.long 0x24141482
.long 0xD100000A, 0x013A1551
.long 0xD86C0000, 0x0C00000A
.long 0x24160082
.long 0xE0501000, 0x80100D0B
.long 0xD1FE0009, 0x020A0103
.long 0xD1000009, 0x013A1351
.long 0xD1196A04, 0x00010300
.long 0xD0C9004A, 0x00003104
.long 0xD0C9004E, 0x00003301
.long 0x86CE4E4A
.long 0x924A02FF, 0x00000100
.long 0xD1350010, 0x00009504
.long 0x24202082
.long 0xD1000010, 0x013A2151
.long 0xD86C0000, 0x12000010
.long 0x24220882
.long 0xE0501000, 0x80101311
.long 0xD1FE000F, 0x020A0903
.long 0xD100000F, 0x013A1F51
	;; [unrolled: 13-line block ×4, first 2 shown]
.long 0xD1196A01, 0x00010301
.long 0xD1340002, 0x00004D02
.long 0xD1340003, 0x00004903
.long 0xD0C9004A, 0x00003100
.long 0xD0C9004E, 0x00003301
.long 0x86CE4E4A
.long 0x924A02FF, 0x00000100
.long 0xD1350022, 0x00009500
.long 0x24444482
.long 0xD1000022, 0x013A4551
.long 0x24460082
.long 0xD1FE0021, 0x020A0103
.long 0xD1000021, 0x013A4351
.long 0xD1196A04, 0x00010300
.long 0xD0C9004A, 0x00003104
.long 0xD0C9004E, 0x00003301
.long 0x86CE4E4A
.long 0x924A02FF, 0x00000100
.long 0xD1350026, 0x00009504
.long 0x244C4C82
.long 0xD1000026, 0x013A4D51
.long 0x244E0882
.long 0xD1FE0025, 0x020A0903
.long 0xD1000025, 0x013A4B51
.long 0xD1196A04, 0x00010500
.long 0xD0C9004A, 0x00003104
.long 0xD0C9004E, 0x00003301
.long 0x86CE4E4A
.long 0x924A02FF, 0x00000100
.long 0xD135002A, 0x00009504
.long 0x24545482
.long 0xD100002A, 0x013A5551
.long 0x24560882
.long 0xD1FE0029, 0x020A0903
.long 0xD1000029, 0x013A5351
.long 0xD1196A04, 0x00010700
.long 0xD0C9004A, 0x00003104
.long 0xD0C9004E, 0x00003301
.long 0x86CE4E4A
.long 0x924A02FF, 0x00000100
.long 0xD135002E, 0x00009504
.long 0x245C5C82
.long 0xD100002E, 0x013A5D51
.long 0x245E0882
.long 0xD1FE002D, 0x020A0903
.long 0xD100002D, 0x013A5B51
.long 0xD1196A01, 0x00010301
.long 0xD1340002, 0x00004D02
.long 0xD1340003, 0x00004903
.long 0xD0C9004A, 0x00003100
.long 0xD0C9004E, 0x00003301
.long 0x86CE4E4A
.long 0x924A02FF, 0x00000100
.long 0xD1350032, 0x00009500
.long 0x24646482
.long 0xD1000032, 0x013A6551
.long 0x24660082
.long 0xD1FE0031, 0x020A0103
.long 0xD1000031, 0x013A6351
.long 0xD1196A04, 0x00010300
.long 0xD0C9004A, 0x00003104
.long 0xD0C9004E, 0x00003301
.long 0x86CE4E4A
.long 0x924A02FF, 0x00000100
.long 0xD1350036, 0x00009504
.long 0x246C6C82
.long 0xD1000036, 0x013A6D51
.long 0x246E0882
.long 0xD1FE0035, 0x020A0903
.long 0xD1000035, 0x013A6B51
.long 0xD1196A04, 0x00010500
.long 0xD0C9004A, 0x00003104
.long 0xD0C9004E, 0x00003301
.long 0x86CE4E4A
.long 0x924A02FF, 0x00000100
.long 0xD135003A, 0x00009504
.long 0x24747482
.long 0xD100003A, 0x013A7551
.long 0x24760882
.long 0xD1FE0039, 0x020A0903
.long 0xD1000039, 0x013A7351
.long 0xD1196A04, 0x00010700
.long 0xD0C9004A, 0x00003104
.long 0xD0C9004E, 0x00003301
.long 0x86CE4E4A
.long 0x924A02FF, 0x00000100
.long 0xD135003E, 0x00009504
.long 0x247C7C82
.long 0xD100003E, 0x013A7D51
.long 0x247E0882
.long 0xD1FE003D, 0x020A0903
.long 0xD100003D, 0x013A7B51
	;; [unrolled: 46-line block ×3, first 2 shown]
.long 0xD3D8400E, 0x18000160
.long 0xD3D84014, 0x18000164
	;; [unrolled: 1-line block ×16, first 2 shown]
.long 0xBF800001
.long 0x0A1C1C2C
	;; [unrolled: 1-line block ×18, first 2 shown]
.long 0xD0CC0034, 0x00010042
.long 0xD100000D, 0x00D21AF2
.long 0x0A1C1D0D
.long 0x02081D0C
.long 0xBEC81E3E
.long 0x7E1C0304
.long 0xE0701000, 0x80040E09
.long 0xD0CC0034, 0x00010042
.long 0xD1000013, 0x00D226F2
.long 0x0A282913
.long 0x02082912
.long 0xBEC81E3E
.long 0x7E280304
.long 0xE0701000, 0x8004140F
	;; [unrolled: 7-line block ×16, first 2 shown]
.long 0xBF800000
.long 0x7EA202FF, 0x80000000
.long 0xD1196A01, 0x00011B01
.long 0x924A8D26
.long 0xD1340002, 0x00009502
.long 0x924A8D24
.long 0xD1340003, 0x00009503
.long 0xD0C9004A, 0x00003100
.long 0xD0C9004E, 0x00003301
.long 0x86CE4E4A
.long 0x924A02FF, 0x00000100
.long 0xD135000A, 0x00009500
.long 0x24141482
.long 0xD100000A, 0x013A1551
.long 0xD86C0000, 0x0C00000A
.long 0x24160082
.long 0xE0501000, 0x80100D0B
.long 0xD1FE0009, 0x020A0103
.long 0xD1000009, 0x013A1351
.long 0xD1196A04, 0x00010300
.long 0xD0C9004A, 0x00003104
.long 0xD0C9004E, 0x00003301
.long 0x86CE4E4A
.long 0x924A02FF, 0x00000100
.long 0xD1350010, 0x00009504
.long 0x24202082
.long 0xD1000010, 0x013A2151
.long 0xD86C0000, 0x12000010
.long 0x24220882
.long 0xE0501000, 0x80101311
.long 0xD1FE000F, 0x020A0903
.long 0xD100000F, 0x013A1F51
	;; [unrolled: 13-line block ×4, first 2 shown]
.long 0xD1196A01, 0x00010301
.long 0xD1340002, 0x00004D02
.long 0xD1340003, 0x00004903
.long 0xD0C9004A, 0x00003100
.long 0xD0C9004E, 0x00003301
.long 0x86CE4E4A
.long 0x924A02FF, 0x00000100
.long 0xD1350022, 0x00009500
.long 0x24444482
.long 0xD1000022, 0x013A4551
.long 0x24460082
.long 0xD1FE0021, 0x020A0103
.long 0xD1000021, 0x013A4351
.long 0xD1196A04, 0x00010300
.long 0xD0C9004A, 0x00003104
.long 0xD0C9004E, 0x00003301
.long 0x86CE4E4A
.long 0x924A02FF, 0x00000100
.long 0xD1350026, 0x00009504
.long 0x244C4C82
.long 0xD1000026, 0x013A4D51
.long 0x244E0882
.long 0xD1FE0025, 0x020A0903
.long 0xD1000025, 0x013A4B51
.long 0xD1196A04, 0x00010500
.long 0xD0C9004A, 0x00003104
.long 0xD0C9004E, 0x00003301
.long 0x86CE4E4A
.long 0x924A02FF, 0x00000100
.long 0xD135002A, 0x00009504
.long 0x24545482
.long 0xD100002A, 0x013A5551
.long 0x24560882
.long 0xD1FE0029, 0x020A0903
.long 0xD1000029, 0x013A5351
.long 0xD1196A04, 0x00010700
.long 0xD0C9004A, 0x00003104
.long 0xD0C9004E, 0x00003301
.long 0x86CE4E4A
.long 0x924A02FF, 0x00000100
.long 0xD135002E, 0x00009504
.long 0x245C5C82
.long 0xD100002E, 0x013A5D51
.long 0x245E0882
.long 0xD1FE002D, 0x020A0903
.long 0xD100002D, 0x013A5B51
.long 0xD1196A01, 0x00010301
.long 0xD1340002, 0x00004D02
.long 0xD1340003, 0x00004903
.long 0xD0C9004A, 0x00003100
.long 0xD0C9004E, 0x00003301
.long 0x86CE4E4A
.long 0x924A02FF, 0x00000100
.long 0xD1350032, 0x00009500
.long 0x24646482
.long 0xD1000032, 0x013A6551
.long 0x24660082
.long 0xD1FE0031, 0x020A0103
.long 0xD1000031, 0x013A6351
.long 0xD1196A04, 0x00010300
.long 0xD0C9004A, 0x00003104
.long 0xD0C9004E, 0x00003301
.long 0x86CE4E4A
.long 0x924A02FF, 0x00000100
.long 0xD1350036, 0x00009504
.long 0x246C6C82
.long 0xD1000036, 0x013A6D51
.long 0x246E0882
.long 0xD1FE0035, 0x020A0903
.long 0xD1000035, 0x013A6B51
.long 0xD1196A04, 0x00010500
.long 0xD0C9004A, 0x00003104
.long 0xD0C9004E, 0x00003301
.long 0x86CE4E4A
.long 0x924A02FF, 0x00000100
.long 0xD135003A, 0x00009504
.long 0x24747482
.long 0xD100003A, 0x013A7551
.long 0x24760882
.long 0xD1FE0039, 0x020A0903
.long 0xD1000039, 0x013A7351
.long 0xD1196A04, 0x00010700
.long 0xD0C9004A, 0x00003104
.long 0xD0C9004E, 0x00003301
.long 0x86CE4E4A
.long 0x924A02FF, 0x00000100
.long 0xD135003E, 0x00009504
.long 0x247C7C82
.long 0xD100003E, 0x013A7D51
.long 0x247E0882
.long 0xD1FE003D, 0x020A0903
.long 0xD100003D, 0x013A7B51
	;; [unrolled: 46-line block ×3, first 2 shown]
.long 0xD3D8400E, 0x18000170
.long 0xD3D84014, 0x18000174
	;; [unrolled: 1-line block ×16, first 2 shown]
.long 0xBF800001
.long 0x0A1C1C2C
	;; [unrolled: 1-line block ×18, first 2 shown]
.long 0xD0CC0034, 0x00010042
.long 0xD100000D, 0x00D21AF2
.long 0x0A1C1D0D
.long 0x02081D0C
.long 0xBEC81E3E
.long 0x7E1C0304
.long 0xE0701000, 0x80040E09
.long 0xD0CC0034, 0x00010042
.long 0xD1000013, 0x00D226F2
.long 0x0A282913
.long 0x02082912
.long 0xBEC81E3E
.long 0x7E280304
.long 0xE0701000, 0x8004140F
	;; [unrolled: 7-line block ×16, first 2 shown]
.long 0xBF800000
.long 0x7EA202FF, 0x80000000
.long 0xD1196A01, 0x00011B01
.long 0x924A8D26
.long 0xD1340002, 0x00009502
.long 0x924A8D24
.long 0xD1340003, 0x00009503
.long 0xD0C9004A, 0x00003100
.long 0xD0C9004E, 0x00003301
.long 0x86CE4E4A
.long 0x924A02FF, 0x00000100
.long 0xD135000A, 0x00009500
.long 0x24141482
.long 0xD100000A, 0x013A1551
.long 0xD86C0000, 0x0C00000A
.long 0x24160082
.long 0xE0501000, 0x80100D0B
.long 0xD1FE0009, 0x020A0103
.long 0xD1000009, 0x013A1351
.long 0xD1196A04, 0x00010300
.long 0xD0C9004A, 0x00003104
.long 0xD0C9004E, 0x00003301
.long 0x86CE4E4A
.long 0x924A02FF, 0x00000100
.long 0xD1350010, 0x00009504
.long 0x24202082
.long 0xD1000010, 0x013A2151
.long 0xD86C0000, 0x12000010
.long 0x24220882
.long 0xE0501000, 0x80101311
.long 0xD1FE000F, 0x020A0903
.long 0xD100000F, 0x013A1F51
	;; [unrolled: 13-line block ×4, first 2 shown]
.long 0xD1196A01, 0x00010301
.long 0xD1340002, 0x00004D02
.long 0xD1340003, 0x00004903
.long 0xD0C9004A, 0x00003100
.long 0xD0C9004E, 0x00003301
.long 0x86CE4E4A
.long 0x924A02FF, 0x00000100
.long 0xD1350022, 0x00009500
.long 0x24444482
.long 0xD1000022, 0x013A4551
.long 0x24460082
.long 0xD1FE0021, 0x020A0103
.long 0xD1000021, 0x013A4351
.long 0xD1196A04, 0x00010300
.long 0xD0C9004A, 0x00003104
.long 0xD0C9004E, 0x00003301
.long 0x86CE4E4A
.long 0x924A02FF, 0x00000100
.long 0xD1350026, 0x00009504
.long 0x244C4C82
.long 0xD1000026, 0x013A4D51
.long 0x244E0882
.long 0xD1FE0025, 0x020A0903
.long 0xD1000025, 0x013A4B51
.long 0xD1196A04, 0x00010500
.long 0xD0C9004A, 0x00003104
.long 0xD0C9004E, 0x00003301
.long 0x86CE4E4A
.long 0x924A02FF, 0x00000100
.long 0xD135002A, 0x00009504
.long 0x24545482
.long 0xD100002A, 0x013A5551
.long 0x24560882
.long 0xD1FE0029, 0x020A0903
.long 0xD1000029, 0x013A5351
.long 0xD1196A04, 0x00010700
.long 0xD0C9004A, 0x00003104
.long 0xD0C9004E, 0x00003301
.long 0x86CE4E4A
.long 0x924A02FF, 0x00000100
.long 0xD135002E, 0x00009504
.long 0x245C5C82
.long 0xD100002E, 0x013A5D51
.long 0x245E0882
.long 0xD1FE002D, 0x020A0903
.long 0xD100002D, 0x013A5B51
.long 0xD1196A01, 0x00010301
.long 0xD1340002, 0x00004D02
.long 0xD1340003, 0x00004903
.long 0xD0C9004A, 0x00003100
.long 0xD0C9004E, 0x00003301
.long 0x86CE4E4A
.long 0x924A02FF, 0x00000100
.long 0xD1350032, 0x00009500
.long 0x24646482
.long 0xD1000032, 0x013A6551
.long 0x24660082
.long 0xD1FE0031, 0x020A0103
.long 0xD1000031, 0x013A6351
.long 0xD1196A04, 0x00010300
.long 0xD0C9004A, 0x00003104
.long 0xD0C9004E, 0x00003301
.long 0x86CE4E4A
.long 0x924A02FF, 0x00000100
.long 0xD1350036, 0x00009504
.long 0x246C6C82
.long 0xD1000036, 0x013A6D51
.long 0x246E0882
.long 0xD1FE0035, 0x020A0903
.long 0xD1000035, 0x013A6B51
.long 0xD1196A04, 0x00010500
.long 0xD0C9004A, 0x00003104
.long 0xD0C9004E, 0x00003301
.long 0x86CE4E4A
.long 0x924A02FF, 0x00000100
.long 0xD135003A, 0x00009504
.long 0x24747482
.long 0xD100003A, 0x013A7551
.long 0x24760882
.long 0xD1FE0039, 0x020A0903
.long 0xD1000039, 0x013A7351
.long 0xD1196A04, 0x00010700
.long 0xD0C9004A, 0x00003104
.long 0xD0C9004E, 0x00003301
.long 0x86CE4E4A
.long 0x924A02FF, 0x00000100
.long 0xD135003E, 0x00009504
.long 0x247C7C82
.long 0xD100003E, 0x013A7D51
.long 0x247E0882
.long 0xD1FE003D, 0x020A0903
.long 0xD100003D, 0x013A7B51
	;; [unrolled: 46-line block ×3, first 2 shown]
.long 0xD3D8400E, 0x18000180
.long 0xD3D84014, 0x18000184
.long 0xD3D8401A, 0x18000188
.long 0xD3D84020, 0x1800018C
.long 0xD3D84024, 0x18000181
.long 0xD3D84028, 0x18000185
.long 0xD3D8402C, 0x18000189
.long 0xD3D84030, 0x1800018D
.long 0xD3D84034, 0x18000182
.long 0xD3D84038, 0x18000186
.long 0xD3D8403C, 0x1800018A
.long 0xD3D84040, 0x1800018E
.long 0xD3D84044, 0x18000183
.long 0xD3D84048, 0x18000187
.long 0xD3D8404C, 0x1800018B
.long 0xD3D84050, 0x1800018F
.long 0xBF800001
.long 0x0A1C1C2C
	;; [unrolled: 1-line block ×18, first 2 shown]
.long 0xD0CC0034, 0x00010042
.long 0xD100000D, 0x00D21AF2
.long 0x0A1C1D0D
.long 0x02081D0C
.long 0xBEC81E3E
.long 0x7E1C0304
.long 0xE0701000, 0x80040E09
.long 0xD0CC0034, 0x00010042
.long 0xD1000013, 0x00D226F2
.long 0x0A282913
.long 0x02082912
.long 0xBEC81E3E
.long 0x7E280304
.long 0xE0701000, 0x8004140F
.long 0xD0CC0034, 0x00010042
.long 0xD1000019, 0x00D232F2
.long 0x0A343519
.long 0x02083518
.long 0xBEC81E3E
.long 0x7E340304
.long 0xE0701000, 0x80041A15
.long 0xD0CC0034, 0x00010042
.long 0xD100001F, 0x00D23EF2
.long 0x0A40411F
.long 0x0208411E
.long 0xBEC81E3E
.long 0x7E400304
.long 0xE0701000, 0x8004201B
.long 0xD0CC0034, 0x00010042
.long 0xD100000D, 0x00D21AF2
.long 0x0A48490D
.long 0x0208490C
.long 0xBEC81E3E
.long 0x7E480304
.long 0xE0701000, 0x80042421
.long 0xD0CC0034, 0x00010042
.long 0xD1000013, 0x00D226F2
.long 0x0A505113
.long 0x02085112
.long 0xBEC81E3E
.long 0x7E500304
.long 0xE0701000, 0x80042825
.long 0xD0CC0034, 0x00010042
.long 0xD1000019, 0x00D232F2
.long 0x0A585919
.long 0x02085918
.long 0xBEC81E3E
.long 0x7E580304
.long 0xE0701000, 0x80042C29
.long 0xD0CC0034, 0x00010042
.long 0xD100001F, 0x00D23EF2
.long 0x0A60611F
.long 0x0208611E
.long 0xBEC81E3E
.long 0x7E600304
.long 0xE0701000, 0x8004302D
.long 0xD0CC0034, 0x00010042
.long 0xD100000D, 0x00D21AF2
.long 0x0A68690D
.long 0x0208690C
.long 0xBEC81E3E
.long 0x7E680304
.long 0xE0701000, 0x80043431
.long 0xD0CC0034, 0x00010042
.long 0xD1000013, 0x00D226F2
.long 0x0A707113
.long 0x02087112
.long 0xBEC81E3E
.long 0x7E700304
.long 0xE0701000, 0x80043835
.long 0xD0CC0034, 0x00010042
.long 0xD1000019, 0x00D232F2
.long 0x0A787919
.long 0x02087918
.long 0xBEC81E3E
.long 0x7E780304
.long 0xE0701000, 0x80043C39
.long 0xD0CC0034, 0x00010042
.long 0xD100001F, 0x00D23EF2
.long 0x0A80811F
.long 0x0208811E
.long 0xBEC81E3E
.long 0x7E800304
.long 0xE0701000, 0x8004403D
.long 0xD0CC0034, 0x00010042
.long 0xD100000D, 0x00D21AF2
.long 0x0A88890D
.long 0x0208890C
.long 0xBEC81E3E
.long 0x7E880304
.long 0xE0701000, 0x80044441
.long 0xD0CC0034, 0x00010042
.long 0xD1000013, 0x00D226F2
.long 0x0A909113
.long 0x02089112
.long 0xBEC81E3E
.long 0x7E900304
.long 0xE0701000, 0x80044845
.long 0xD0CC0034, 0x00010042
.long 0xD1000019, 0x00D232F2
.long 0x0A989919
.long 0x02089918
.long 0xBEC81E3E
.long 0x7E980304
.long 0xE0701000, 0x80044C49
.long 0xD0CC0034, 0x00010042
.long 0xD100001F, 0x00D23EF2
.long 0x0AA0A11F
.long 0x0208A11E
.long 0xBEC81E3E
.long 0x7EA00304
.long 0xE0701000, 0x8004504D
.long 0xBF800000
.long 0x7EA202FF, 0x80000000
.long 0xD1196A01, 0x00011B01
.long 0x924A8D26
.long 0xD1340002, 0x00009502
.long 0x924A8D24
.long 0xD1340003, 0x00009503
.long 0xD0C9004A, 0x00003100
.long 0xD0C9004E, 0x00003301
.long 0x86CE4E4A
.long 0x924A02FF, 0x00000100
.long 0xD135000A, 0x00009500
.long 0x24141482
.long 0xD100000A, 0x013A1551
.long 0xD86C0000, 0x0C00000A
.long 0x24160082
.long 0xE0501000, 0x80100D0B
.long 0xD1FE0009, 0x020A0103
.long 0xD1000009, 0x013A1351
.long 0xD1196A04, 0x00010300
.long 0xD0C9004A, 0x00003104
.long 0xD0C9004E, 0x00003301
.long 0x86CE4E4A
.long 0x924A02FF, 0x00000100
.long 0xD1350010, 0x00009504
.long 0x24202082
.long 0xD1000010, 0x013A2151
.long 0xD86C0000, 0x12000010
.long 0x24220882
.long 0xE0501000, 0x80101311
.long 0xD1FE000F, 0x020A0903
.long 0xD100000F, 0x013A1F51
	;; [unrolled: 13-line block ×4, first 2 shown]
.long 0xD1196A01, 0x00010301
.long 0xD1340002, 0x00004D02
.long 0xD1340003, 0x00004903
.long 0xD0C9004A, 0x00003100
.long 0xD0C9004E, 0x00003301
.long 0x86CE4E4A
.long 0x924A02FF, 0x00000100
.long 0xD1350022, 0x00009500
.long 0x24444482
.long 0xD1000022, 0x013A4551
.long 0x24460082
.long 0xD1FE0021, 0x020A0103
.long 0xD1000021, 0x013A4351
.long 0xD1196A04, 0x00010300
.long 0xD0C9004A, 0x00003104
.long 0xD0C9004E, 0x00003301
.long 0x86CE4E4A
.long 0x924A02FF, 0x00000100
.long 0xD1350026, 0x00009504
.long 0x244C4C82
.long 0xD1000026, 0x013A4D51
.long 0x244E0882
.long 0xD1FE0025, 0x020A0903
.long 0xD1000025, 0x013A4B51
.long 0xD1196A04, 0x00010500
.long 0xD0C9004A, 0x00003104
.long 0xD0C9004E, 0x00003301
.long 0x86CE4E4A
.long 0x924A02FF, 0x00000100
.long 0xD135002A, 0x00009504
.long 0x24545482
.long 0xD100002A, 0x013A5551
.long 0x24560882
.long 0xD1FE0029, 0x020A0903
.long 0xD1000029, 0x013A5351
.long 0xD1196A04, 0x00010700
.long 0xD0C9004A, 0x00003104
.long 0xD0C9004E, 0x00003301
.long 0x86CE4E4A
.long 0x924A02FF, 0x00000100
.long 0xD135002E, 0x00009504
.long 0x245C5C82
.long 0xD100002E, 0x013A5D51
.long 0x245E0882
.long 0xD1FE002D, 0x020A0903
.long 0xD100002D, 0x013A5B51
.long 0xD1196A01, 0x00010301
.long 0xD1340002, 0x00004D02
.long 0xD1340003, 0x00004903
.long 0xD0C9004A, 0x00003100
.long 0xD0C9004E, 0x00003301
.long 0x86CE4E4A
.long 0x924A02FF, 0x00000100
.long 0xD1350032, 0x00009500
.long 0x24646482
.long 0xD1000032, 0x013A6551
.long 0x24660082
.long 0xD1FE0031, 0x020A0103
.long 0xD1000031, 0x013A6351
.long 0xD1196A04, 0x00010300
.long 0xD0C9004A, 0x00003104
.long 0xD0C9004E, 0x00003301
.long 0x86CE4E4A
.long 0x924A02FF, 0x00000100
.long 0xD1350036, 0x00009504
.long 0x246C6C82
.long 0xD1000036, 0x013A6D51
.long 0x246E0882
.long 0xD1FE0035, 0x020A0903
.long 0xD1000035, 0x013A6B51
.long 0xD1196A04, 0x00010500
.long 0xD0C9004A, 0x00003104
.long 0xD0C9004E, 0x00003301
.long 0x86CE4E4A
.long 0x924A02FF, 0x00000100
.long 0xD135003A, 0x00009504
.long 0x24747482
.long 0xD100003A, 0x013A7551
.long 0x24760882
.long 0xD1FE0039, 0x020A0903
.long 0xD1000039, 0x013A7351
.long 0xD1196A04, 0x00010700
.long 0xD0C9004A, 0x00003104
.long 0xD0C9004E, 0x00003301
.long 0x86CE4E4A
.long 0x924A02FF, 0x00000100
.long 0xD135003E, 0x00009504
.long 0x247C7C82
.long 0xD100003E, 0x013A7D51
.long 0x247E0882
.long 0xD1FE003D, 0x020A0903
.long 0xD100003D, 0x013A7B51
	;; [unrolled: 46-line block ×3, first 2 shown]
.long 0xD3D8400E, 0x18000190
.long 0xD3D84014, 0x18000194
	;; [unrolled: 1-line block ×16, first 2 shown]
.long 0xBF800001
.long 0x0A1C1C2C
	;; [unrolled: 1-line block ×18, first 2 shown]
.long 0xD0CC0034, 0x00010042
.long 0xD100000D, 0x00D21AF2
.long 0x0A1C1D0D
.long 0x02081D0C
.long 0xBEC81E3E
.long 0x7E1C0304
.long 0xE0701000, 0x80040E09
.long 0xD0CC0034, 0x00010042
.long 0xD1000013, 0x00D226F2
.long 0x0A282913
.long 0x02082912
.long 0xBEC81E3E
.long 0x7E280304
.long 0xE0701000, 0x8004140F
	;; [unrolled: 7-line block ×16, first 2 shown]
.long 0xBF800000
.long 0x7EA202FF, 0x80000000
.long 0xD1196A01, 0x00011B01
.long 0x924A8D26
.long 0xD1340002, 0x00009502
.long 0x924A8D24
.long 0xD1340003, 0x00009503
.long 0xD0C9004A, 0x00003100
.long 0xD0C9004E, 0x00003301
.long 0x86CE4E4A
.long 0x924A02FF, 0x00000100
.long 0xD135000A, 0x00009500
.long 0x24141482
.long 0xD100000A, 0x013A1551
.long 0xD86C0000, 0x0C00000A
.long 0x24160082
.long 0xE0501000, 0x80100D0B
.long 0xD1FE0009, 0x020A0103
.long 0xD1000009, 0x013A1351
.long 0xD1196A04, 0x00010300
.long 0xD0C9004A, 0x00003104
.long 0xD0C9004E, 0x00003301
.long 0x86CE4E4A
.long 0x924A02FF, 0x00000100
.long 0xD1350010, 0x00009504
.long 0x24202082
.long 0xD1000010, 0x013A2151
.long 0xD86C0000, 0x12000010
.long 0x24220882
.long 0xE0501000, 0x80101311
.long 0xD1FE000F, 0x020A0903
.long 0xD100000F, 0x013A1F51
	;; [unrolled: 13-line block ×4, first 2 shown]
.long 0xD1196A01, 0x00010301
.long 0xD1340002, 0x00004D02
.long 0xD1340003, 0x00004903
.long 0xD0C9004A, 0x00003100
.long 0xD0C9004E, 0x00003301
.long 0x86CE4E4A
.long 0x924A02FF, 0x00000100
.long 0xD1350022, 0x00009500
.long 0x24444482
.long 0xD1000022, 0x013A4551
.long 0x24460082
.long 0xD1FE0021, 0x020A0103
.long 0xD1000021, 0x013A4351
.long 0xD1196A04, 0x00010300
.long 0xD0C9004A, 0x00003104
.long 0xD0C9004E, 0x00003301
.long 0x86CE4E4A
.long 0x924A02FF, 0x00000100
.long 0xD1350026, 0x00009504
.long 0x244C4C82
.long 0xD1000026, 0x013A4D51
.long 0x244E0882
.long 0xD1FE0025, 0x020A0903
.long 0xD1000025, 0x013A4B51
.long 0xD1196A04, 0x00010500
.long 0xD0C9004A, 0x00003104
.long 0xD0C9004E, 0x00003301
.long 0x86CE4E4A
.long 0x924A02FF, 0x00000100
.long 0xD135002A, 0x00009504
.long 0x24545482
.long 0xD100002A, 0x013A5551
.long 0x24560882
.long 0xD1FE0029, 0x020A0903
.long 0xD1000029, 0x013A5351
.long 0xD1196A04, 0x00010700
.long 0xD0C9004A, 0x00003104
.long 0xD0C9004E, 0x00003301
.long 0x86CE4E4A
.long 0x924A02FF, 0x00000100
.long 0xD135002E, 0x00009504
.long 0x245C5C82
.long 0xD100002E, 0x013A5D51
.long 0x245E0882
.long 0xD1FE002D, 0x020A0903
.long 0xD100002D, 0x013A5B51
.long 0xD1196A01, 0x00010301
.long 0xD1340002, 0x00004D02
.long 0xD1340003, 0x00004903
.long 0xD0C9004A, 0x00003100
.long 0xD0C9004E, 0x00003301
.long 0x86CE4E4A
.long 0x924A02FF, 0x00000100
.long 0xD1350032, 0x00009500
.long 0x24646482
.long 0xD1000032, 0x013A6551
.long 0x24660082
.long 0xD1FE0031, 0x020A0103
.long 0xD1000031, 0x013A6351
.long 0xD1196A04, 0x00010300
.long 0xD0C9004A, 0x00003104
.long 0xD0C9004E, 0x00003301
.long 0x86CE4E4A
.long 0x924A02FF, 0x00000100
.long 0xD1350036, 0x00009504
.long 0x246C6C82
.long 0xD1000036, 0x013A6D51
.long 0x246E0882
.long 0xD1FE0035, 0x020A0903
.long 0xD1000035, 0x013A6B51
.long 0xD1196A04, 0x00010500
.long 0xD0C9004A, 0x00003104
.long 0xD0C9004E, 0x00003301
.long 0x86CE4E4A
.long 0x924A02FF, 0x00000100
.long 0xD135003A, 0x00009504
.long 0x24747482
.long 0xD100003A, 0x013A7551
.long 0x24760882
.long 0xD1FE0039, 0x020A0903
.long 0xD1000039, 0x013A7351
.long 0xD1196A04, 0x00010700
.long 0xD0C9004A, 0x00003104
.long 0xD0C9004E, 0x00003301
.long 0x86CE4E4A
.long 0x924A02FF, 0x00000100
.long 0xD135003E, 0x00009504
.long 0x247C7C82
.long 0xD100003E, 0x013A7D51
.long 0x247E0882
.long 0xD1FE003D, 0x020A0903
.long 0xD100003D, 0x013A7B51
	;; [unrolled: 46-line block ×3, first 2 shown]
.long 0xD3D8400E, 0x180001A0
.long 0xD3D84014, 0x180001A4
	;; [unrolled: 1-line block ×16, first 2 shown]
.long 0xBF800001
.long 0x0A1C1C2C
	;; [unrolled: 1-line block ×18, first 2 shown]
.long 0xD0CC0034, 0x00010042
.long 0xD100000D, 0x00D21AF2
.long 0x0A1C1D0D
.long 0x02081D0C
.long 0xBEC81E3E
.long 0x7E1C0304
.long 0xE0701000, 0x80040E09
.long 0xD0CC0034, 0x00010042
.long 0xD1000013, 0x00D226F2
.long 0x0A282913
.long 0x02082912
.long 0xBEC81E3E
.long 0x7E280304
.long 0xE0701000, 0x8004140F
	;; [unrolled: 7-line block ×16, first 2 shown]
.long 0xBF800000
.long 0x7EA202FF, 0x80000000
.long 0xD1196A01, 0x00011B01
.long 0x924A8D26
.long 0xD1340002, 0x00009502
.long 0x924A8D24
.long 0xD1340003, 0x00009503
.long 0xD0C9004A, 0x00003100
.long 0xD0C9004E, 0x00003301
.long 0x86CE4E4A
.long 0x924A02FF, 0x00000100
.long 0xD135000A, 0x00009500
.long 0x24141482
.long 0xD100000A, 0x013A1551
.long 0xD86C0000, 0x0C00000A
.long 0x24160082
.long 0xE0501000, 0x80100D0B
.long 0xD1FE0009, 0x020A0103
.long 0xD1000009, 0x013A1351
.long 0xD1196A04, 0x00010300
.long 0xD0C9004A, 0x00003104
.long 0xD0C9004E, 0x00003301
.long 0x86CE4E4A
.long 0x924A02FF, 0x00000100
.long 0xD1350010, 0x00009504
.long 0x24202082
.long 0xD1000010, 0x013A2151
.long 0xD86C0000, 0x12000010
.long 0x24220882
.long 0xE0501000, 0x80101311
.long 0xD1FE000F, 0x020A0903
.long 0xD100000F, 0x013A1F51
	;; [unrolled: 13-line block ×4, first 2 shown]
.long 0xD1196A01, 0x00010301
.long 0xD1340002, 0x00004D02
.long 0xD1340003, 0x00004903
.long 0xD0C9004A, 0x00003100
.long 0xD0C9004E, 0x00003301
.long 0x86CE4E4A
.long 0x924A02FF, 0x00000100
.long 0xD1350022, 0x00009500
.long 0x24444482
.long 0xD1000022, 0x013A4551
.long 0x24460082
.long 0xD1FE0021, 0x020A0103
.long 0xD1000021, 0x013A4351
.long 0xD1196A04, 0x00010300
.long 0xD0C9004A, 0x00003104
.long 0xD0C9004E, 0x00003301
.long 0x86CE4E4A
.long 0x924A02FF, 0x00000100
.long 0xD1350026, 0x00009504
.long 0x244C4C82
.long 0xD1000026, 0x013A4D51
.long 0x244E0882
.long 0xD1FE0025, 0x020A0903
.long 0xD1000025, 0x013A4B51
.long 0xD1196A04, 0x00010500
.long 0xD0C9004A, 0x00003104
.long 0xD0C9004E, 0x00003301
.long 0x86CE4E4A
.long 0x924A02FF, 0x00000100
.long 0xD135002A, 0x00009504
.long 0x24545482
.long 0xD100002A, 0x013A5551
.long 0x24560882
.long 0xD1FE0029, 0x020A0903
.long 0xD1000029, 0x013A5351
.long 0xD1196A04, 0x00010700
.long 0xD0C9004A, 0x00003104
.long 0xD0C9004E, 0x00003301
.long 0x86CE4E4A
.long 0x924A02FF, 0x00000100
.long 0xD135002E, 0x00009504
.long 0x245C5C82
.long 0xD100002E, 0x013A5D51
.long 0x245E0882
.long 0xD1FE002D, 0x020A0903
.long 0xD100002D, 0x013A5B51
.long 0xD1196A01, 0x00010301
.long 0xD1340002, 0x00004D02
.long 0xD1340003, 0x00004903
.long 0xD0C9004A, 0x00003100
.long 0xD0C9004E, 0x00003301
.long 0x86CE4E4A
.long 0x924A02FF, 0x00000100
.long 0xD1350032, 0x00009500
.long 0x24646482
.long 0xD1000032, 0x013A6551
.long 0x24660082
.long 0xD1FE0031, 0x020A0103
.long 0xD1000031, 0x013A6351
.long 0xD1196A04, 0x00010300
.long 0xD0C9004A, 0x00003104
.long 0xD0C9004E, 0x00003301
.long 0x86CE4E4A
.long 0x924A02FF, 0x00000100
.long 0xD1350036, 0x00009504
.long 0x246C6C82
.long 0xD1000036, 0x013A6D51
.long 0x246E0882
.long 0xD1FE0035, 0x020A0903
.long 0xD1000035, 0x013A6B51
.long 0xD1196A04, 0x00010500
.long 0xD0C9004A, 0x00003104
.long 0xD0C9004E, 0x00003301
.long 0x86CE4E4A
.long 0x924A02FF, 0x00000100
.long 0xD135003A, 0x00009504
.long 0x24747482
.long 0xD100003A, 0x013A7551
.long 0x24760882
.long 0xD1FE0039, 0x020A0903
.long 0xD1000039, 0x013A7351
.long 0xD1196A04, 0x00010700
.long 0xD0C9004A, 0x00003104
.long 0xD0C9004E, 0x00003301
.long 0x86CE4E4A
.long 0x924A02FF, 0x00000100
.long 0xD135003E, 0x00009504
.long 0x247C7C82
.long 0xD100003E, 0x013A7D51
.long 0x247E0882
.long 0xD1FE003D, 0x020A0903
.long 0xD100003D, 0x013A7B51
	;; [unrolled: 46-line block ×3, first 2 shown]
.long 0xD3D8400E, 0x180001B0
.long 0xD3D84014, 0x180001B4
	;; [unrolled: 1-line block ×16, first 2 shown]
.long 0xBF800001
.long 0x0A1C1C2C
	;; [unrolled: 1-line block ×18, first 2 shown]
.long 0xD0CC0034, 0x00010042
.long 0xD100000D, 0x00D21AF2
.long 0x0A1C1D0D
.long 0x02081D0C
.long 0xBEC81E3E
.long 0x7E1C0304
.long 0xE0701000, 0x80040E09
.long 0xD0CC0034, 0x00010042
.long 0xD1000013, 0x00D226F2
.long 0x0A282913
.long 0x02082912
.long 0xBEC81E3E
.long 0x7E280304
.long 0xE0701000, 0x8004140F
	;; [unrolled: 7-line block ×16, first 2 shown]
.long 0xBF800000
.long 0x7EA202FF, 0x80000000
.long 0xD1196A01, 0x00011B01
.long 0x924A8D26
.long 0xD1340002, 0x00009502
.long 0x924A8D24
.long 0xD1340003, 0x00009503
.long 0xD0C9004A, 0x00003100
.long 0xD0C9004E, 0x00003301
.long 0x86CE4E4A
.long 0x924A02FF, 0x00000100
.long 0xD135000A, 0x00009500
.long 0x24141482
.long 0xD100000A, 0x013A1551
.long 0xD86C0000, 0x0C00000A
.long 0x24160082
.long 0xE0501000, 0x80100D0B
.long 0xD1FE0009, 0x020A0103
.long 0xD1000009, 0x013A1351
.long 0xD1196A04, 0x00010300
.long 0xD0C9004A, 0x00003104
.long 0xD0C9004E, 0x00003301
.long 0x86CE4E4A
.long 0x924A02FF, 0x00000100
.long 0xD1350010, 0x00009504
.long 0x24202082
.long 0xD1000010, 0x013A2151
.long 0xD86C0000, 0x12000010
.long 0x24220882
.long 0xE0501000, 0x80101311
.long 0xD1FE000F, 0x020A0903
.long 0xD100000F, 0x013A1F51
.long 0xD1196A04, 0x00010500
.long 0xD0C9004A, 0x00003104
.long 0xD0C9004E, 0x00003301
.long 0x86CE4E4A
.long 0x924A02FF, 0x00000100
.long 0xD1350016, 0x00009504
.long 0x242C2C82
.long 0xD1000016, 0x013A2D51
.long 0xD86C0000, 0x18000016
.long 0x242E0882
.long 0xE0501000, 0x80101917
.long 0xD1FE0015, 0x020A0903
.long 0xD1000015, 0x013A2B51
.long 0xD1196A04, 0x00010700
.long 0xD0C9004A, 0x00003104
.long 0xD0C9004E, 0x00003301
.long 0x86CE4E4A
.long 0x924A02FF, 0x00000100
.long 0xD135001C, 0x00009504
.long 0x24383882
.long 0xD100001C, 0x013A3951
.long 0xD86C0000, 0x1E00001C
.long 0x243A0882
.long 0xE0501000, 0x80101F1D
.long 0xD1FE001B, 0x020A0903
.long 0xD100001B, 0x013A3751
.long 0xD1196A01, 0x00010301
.long 0xD1340002, 0x00004D02
.long 0xD1340003, 0x00004903
.long 0xD0C9004A, 0x00003100
.long 0xD0C9004E, 0x00003301
.long 0x86CE4E4A
.long 0x924A02FF, 0x00000100
.long 0xD1350022, 0x00009500
.long 0x24444482
.long 0xD1000022, 0x013A4551
.long 0x24460082
.long 0xD1FE0021, 0x020A0103
.long 0xD1000021, 0x013A4351
.long 0xD1196A04, 0x00010300
.long 0xD0C9004A, 0x00003104
.long 0xD0C9004E, 0x00003301
.long 0x86CE4E4A
.long 0x924A02FF, 0x00000100
.long 0xD1350026, 0x00009504
.long 0x244C4C82
.long 0xD1000026, 0x013A4D51
.long 0x244E0882
.long 0xD1FE0025, 0x020A0903
.long 0xD1000025, 0x013A4B51
.long 0xD1196A04, 0x00010500
.long 0xD0C9004A, 0x00003104
.long 0xD0C9004E, 0x00003301
.long 0x86CE4E4A
.long 0x924A02FF, 0x00000100
.long 0xD135002A, 0x00009504
.long 0x24545482
.long 0xD100002A, 0x013A5551
.long 0x24560882
.long 0xD1FE0029, 0x020A0903
.long 0xD1000029, 0x013A5351
.long 0xD1196A04, 0x00010700
.long 0xD0C9004A, 0x00003104
.long 0xD0C9004E, 0x00003301
.long 0x86CE4E4A
.long 0x924A02FF, 0x00000100
.long 0xD135002E, 0x00009504
.long 0x245C5C82
.long 0xD100002E, 0x013A5D51
.long 0x245E0882
.long 0xD1FE002D, 0x020A0903
.long 0xD100002D, 0x013A5B51
.long 0xD1196A01, 0x00010301
.long 0xD1340002, 0x00004D02
.long 0xD1340003, 0x00004903
.long 0xD0C9004A, 0x00003100
.long 0xD0C9004E, 0x00003301
.long 0x86CE4E4A
.long 0x924A02FF, 0x00000100
.long 0xD1350032, 0x00009500
.long 0x24646482
.long 0xD1000032, 0x013A6551
.long 0x24660082
.long 0xD1FE0031, 0x020A0103
.long 0xD1000031, 0x013A6351
.long 0xD1196A04, 0x00010300
.long 0xD0C9004A, 0x00003104
.long 0xD0C9004E, 0x00003301
.long 0x86CE4E4A
.long 0x924A02FF, 0x00000100
.long 0xD1350036, 0x00009504
.long 0x246C6C82
.long 0xD1000036, 0x013A6D51
.long 0x246E0882
.long 0xD1FE0035, 0x020A0903
.long 0xD1000035, 0x013A6B51
.long 0xD1196A04, 0x00010500
.long 0xD0C9004A, 0x00003104
.long 0xD0C9004E, 0x00003301
.long 0x86CE4E4A
.long 0x924A02FF, 0x00000100
.long 0xD135003A, 0x00009504
.long 0x24747482
.long 0xD100003A, 0x013A7551
.long 0x24760882
.long 0xD1FE0039, 0x020A0903
.long 0xD1000039, 0x013A7351
.long 0xD1196A04, 0x00010700
.long 0xD0C9004A, 0x00003104
.long 0xD0C9004E, 0x00003301
.long 0x86CE4E4A
.long 0x924A02FF, 0x00000100
.long 0xD135003E, 0x00009504
.long 0x247C7C82
.long 0xD100003E, 0x013A7D51
.long 0x247E0882
.long 0xD1FE003D, 0x020A0903
.long 0xD100003D, 0x013A7B51
	;; [unrolled: 46-line block ×3, first 2 shown]
.long 0xD3D8400E, 0x180001C0
.long 0xD3D84014, 0x180001C4
	;; [unrolled: 1-line block ×16, first 2 shown]
.long 0xBF800001
.long 0x0A1C1C2C
	;; [unrolled: 1-line block ×18, first 2 shown]
.long 0xD0CC0034, 0x00010042
.long 0xD100000D, 0x00D21AF2
.long 0x0A1C1D0D
.long 0x02081D0C
.long 0xBEC81E3E
.long 0x7E1C0304
.long 0xE0701000, 0x80040E09
.long 0xD0CC0034, 0x00010042
.long 0xD1000013, 0x00D226F2
.long 0x0A282913
.long 0x02082912
.long 0xBEC81E3E
.long 0x7E280304
.long 0xE0701000, 0x8004140F
	;; [unrolled: 7-line block ×16, first 2 shown]
.long 0xBF800000
.long 0x7EA202FF, 0x80000000
.long 0xD1196A01, 0x00011B01
.long 0x924A8D26
.long 0xD1340002, 0x00009502
.long 0x924A8D24
.long 0xD1340003, 0x00009503
.long 0xD0C9004A, 0x00003100
.long 0xD0C9004E, 0x00003301
.long 0x86CE4E4A
.long 0x924A02FF, 0x00000100
.long 0xD135000A, 0x00009500
.long 0x24141482
.long 0xD100000A, 0x013A1551
.long 0xD86C0000, 0x0C00000A
.long 0x24160082
.long 0xE0501000, 0x80100D0B
.long 0xD1FE0009, 0x020A0103
.long 0xD1000009, 0x013A1351
.long 0xD1196A04, 0x00010300
.long 0xD0C9004A, 0x00003104
.long 0xD0C9004E, 0x00003301
.long 0x86CE4E4A
.long 0x924A02FF, 0x00000100
.long 0xD1350010, 0x00009504
.long 0x24202082
.long 0xD1000010, 0x013A2151
.long 0xD86C0000, 0x12000010
.long 0x24220882
.long 0xE0501000, 0x80101311
.long 0xD1FE000F, 0x020A0903
.long 0xD100000F, 0x013A1F51
.long 0xD1196A04, 0x00010500
.long 0xD0C9004A, 0x00003104
.long 0xD0C9004E, 0x00003301
.long 0x86CE4E4A
.long 0x924A02FF, 0x00000100
.long 0xD1350016, 0x00009504
.long 0x242C2C82
.long 0xD1000016, 0x013A2D51
.long 0xD86C0000, 0x18000016
.long 0x242E0882
.long 0xE0501000, 0x80101917
.long 0xD1FE0015, 0x020A0903
.long 0xD1000015, 0x013A2B51
.long 0xD1196A04, 0x00010700
.long 0xD0C9004A, 0x00003104
.long 0xD0C9004E, 0x00003301
.long 0x86CE4E4A
.long 0x924A02FF, 0x00000100
.long 0xD135001C, 0x00009504
.long 0x24383882
.long 0xD100001C, 0x013A3951
.long 0xD86C0000, 0x1E00001C
.long 0x243A0882
.long 0xE0501000, 0x80101F1D
.long 0xD1FE001B, 0x020A0903
.long 0xD100001B, 0x013A3751
.long 0xD1196A01, 0x00010301
.long 0xD1340002, 0x00004D02
.long 0xD1340003, 0x00004903
.long 0xD0C9004A, 0x00003100
.long 0xD0C9004E, 0x00003301
.long 0x86CE4E4A
.long 0x924A02FF, 0x00000100
.long 0xD1350022, 0x00009500
.long 0x24444482
.long 0xD1000022, 0x013A4551
.long 0x24460082
.long 0xD1FE0021, 0x020A0103
.long 0xD1000021, 0x013A4351
.long 0xD1196A04, 0x00010300
.long 0xD0C9004A, 0x00003104
.long 0xD0C9004E, 0x00003301
.long 0x86CE4E4A
.long 0x924A02FF, 0x00000100
.long 0xD1350026, 0x00009504
.long 0x244C4C82
.long 0xD1000026, 0x013A4D51
.long 0x244E0882
.long 0xD1FE0025, 0x020A0903
.long 0xD1000025, 0x013A4B51
.long 0xD1196A04, 0x00010500
.long 0xD0C9004A, 0x00003104
.long 0xD0C9004E, 0x00003301
.long 0x86CE4E4A
.long 0x924A02FF, 0x00000100
.long 0xD135002A, 0x00009504
.long 0x24545482
.long 0xD100002A, 0x013A5551
.long 0x24560882
.long 0xD1FE0029, 0x020A0903
.long 0xD1000029, 0x013A5351
.long 0xD1196A04, 0x00010700
.long 0xD0C9004A, 0x00003104
.long 0xD0C9004E, 0x00003301
.long 0x86CE4E4A
.long 0x924A02FF, 0x00000100
.long 0xD135002E, 0x00009504
.long 0x245C5C82
.long 0xD100002E, 0x013A5D51
.long 0x245E0882
.long 0xD1FE002D, 0x020A0903
.long 0xD100002D, 0x013A5B51
.long 0xD1196A01, 0x00010301
.long 0xD1340002, 0x00004D02
.long 0xD1340003, 0x00004903
.long 0xD0C9004A, 0x00003100
.long 0xD0C9004E, 0x00003301
.long 0x86CE4E4A
.long 0x924A02FF, 0x00000100
.long 0xD1350032, 0x00009500
.long 0x24646482
.long 0xD1000032, 0x013A6551
.long 0x24660082
.long 0xD1FE0031, 0x020A0103
.long 0xD1000031, 0x013A6351
.long 0xD1196A04, 0x00010300
.long 0xD0C9004A, 0x00003104
.long 0xD0C9004E, 0x00003301
.long 0x86CE4E4A
.long 0x924A02FF, 0x00000100
.long 0xD1350036, 0x00009504
.long 0x246C6C82
.long 0xD1000036, 0x013A6D51
.long 0x246E0882
.long 0xD1FE0035, 0x020A0903
.long 0xD1000035, 0x013A6B51
.long 0xD1196A04, 0x00010500
.long 0xD0C9004A, 0x00003104
.long 0xD0C9004E, 0x00003301
.long 0x86CE4E4A
.long 0x924A02FF, 0x00000100
.long 0xD135003A, 0x00009504
.long 0x24747482
.long 0xD100003A, 0x013A7551
.long 0x24760882
.long 0xD1FE0039, 0x020A0903
.long 0xD1000039, 0x013A7351
.long 0xD1196A04, 0x00010700
.long 0xD0C9004A, 0x00003104
.long 0xD0C9004E, 0x00003301
.long 0x86CE4E4A
.long 0x924A02FF, 0x00000100
.long 0xD135003E, 0x00009504
.long 0x247C7C82
.long 0xD100003E, 0x013A7D51
.long 0x247E0882
.long 0xD1FE003D, 0x020A0903
.long 0xD100003D, 0x013A7B51
	;; [unrolled: 46-line block ×3, first 2 shown]
.long 0xD3D8400E, 0x180001D0
.long 0xD3D84014, 0x180001D4
	;; [unrolled: 1-line block ×16, first 2 shown]
.long 0xBF800001
.long 0x0A1C1C2C
	;; [unrolled: 1-line block ×18, first 2 shown]
.long 0xD0CC0034, 0x00010042
.long 0xD100000D, 0x00D21AF2
.long 0x0A1C1D0D
.long 0x02081D0C
.long 0xBEC81E3E
.long 0x7E1C0304
.long 0xE0701000, 0x80040E09
.long 0xD0CC0034, 0x00010042
.long 0xD1000013, 0x00D226F2
.long 0x0A282913
.long 0x02082912
.long 0xBEC81E3E
.long 0x7E280304
.long 0xE0701000, 0x8004140F
	;; [unrolled: 7-line block ×16, first 2 shown]
.long 0xBF800000
.long 0x7EA202FF, 0x80000000
.long 0xD1196A01, 0x00011B01
.long 0x924A8D26
.long 0xD1340002, 0x00009502
.long 0x924A8D24
.long 0xD1340003, 0x00009503
.long 0xD0C9004A, 0x00003100
.long 0xD0C9004E, 0x00003301
.long 0x86CE4E4A
.long 0x924A02FF, 0x00000100
.long 0xD135000A, 0x00009500
.long 0x24141482
.long 0xD100000A, 0x013A1551
.long 0xD86C0000, 0x0C00000A
.long 0x24160082
.long 0xE0501000, 0x80100D0B
.long 0xD1FE0009, 0x020A0103
.long 0xD1000009, 0x013A1351
.long 0xD1196A04, 0x00010300
.long 0xD0C9004A, 0x00003104
.long 0xD0C9004E, 0x00003301
.long 0x86CE4E4A
.long 0x924A02FF, 0x00000100
.long 0xD1350010, 0x00009504
.long 0x24202082
.long 0xD1000010, 0x013A2151
.long 0xD86C0000, 0x12000010
.long 0x24220882
.long 0xE0501000, 0x80101311
.long 0xD1FE000F, 0x020A0903
.long 0xD100000F, 0x013A1F51
	;; [unrolled: 13-line block ×4, first 2 shown]
.long 0xD1196A01, 0x00010301
.long 0xD1340002, 0x00004D02
.long 0xD1340003, 0x00004903
.long 0xD0C9004A, 0x00003100
.long 0xD0C9004E, 0x00003301
.long 0x86CE4E4A
.long 0x924A02FF, 0x00000100
.long 0xD1350022, 0x00009500
.long 0x24444482
.long 0xD1000022, 0x013A4551
.long 0x24460082
.long 0xD1FE0021, 0x020A0103
.long 0xD1000021, 0x013A4351
.long 0xD1196A04, 0x00010300
.long 0xD0C9004A, 0x00003104
.long 0xD0C9004E, 0x00003301
.long 0x86CE4E4A
.long 0x924A02FF, 0x00000100
.long 0xD1350026, 0x00009504
.long 0x244C4C82
.long 0xD1000026, 0x013A4D51
.long 0x244E0882
.long 0xD1FE0025, 0x020A0903
.long 0xD1000025, 0x013A4B51
.long 0xD1196A04, 0x00010500
.long 0xD0C9004A, 0x00003104
.long 0xD0C9004E, 0x00003301
.long 0x86CE4E4A
.long 0x924A02FF, 0x00000100
.long 0xD135002A, 0x00009504
.long 0x24545482
.long 0xD100002A, 0x013A5551
.long 0x24560882
.long 0xD1FE0029, 0x020A0903
.long 0xD1000029, 0x013A5351
.long 0xD1196A04, 0x00010700
.long 0xD0C9004A, 0x00003104
.long 0xD0C9004E, 0x00003301
.long 0x86CE4E4A
.long 0x924A02FF, 0x00000100
.long 0xD135002E, 0x00009504
.long 0x245C5C82
.long 0xD100002E, 0x013A5D51
.long 0x245E0882
.long 0xD1FE002D, 0x020A0903
.long 0xD100002D, 0x013A5B51
.long 0xD1196A01, 0x00010301
.long 0xD1340002, 0x00004D02
.long 0xD1340003, 0x00004903
.long 0xD0C9004A, 0x00003100
.long 0xD0C9004E, 0x00003301
.long 0x86CE4E4A
.long 0x924A02FF, 0x00000100
.long 0xD1350032, 0x00009500
.long 0x24646482
.long 0xD1000032, 0x013A6551
.long 0x24660082
.long 0xD1FE0031, 0x020A0103
.long 0xD1000031, 0x013A6351
.long 0xD1196A04, 0x00010300
.long 0xD0C9004A, 0x00003104
.long 0xD0C9004E, 0x00003301
.long 0x86CE4E4A
.long 0x924A02FF, 0x00000100
.long 0xD1350036, 0x00009504
.long 0x246C6C82
.long 0xD1000036, 0x013A6D51
.long 0x246E0882
.long 0xD1FE0035, 0x020A0903
.long 0xD1000035, 0x013A6B51
.long 0xD1196A04, 0x00010500
.long 0xD0C9004A, 0x00003104
.long 0xD0C9004E, 0x00003301
.long 0x86CE4E4A
.long 0x924A02FF, 0x00000100
.long 0xD135003A, 0x00009504
.long 0x24747482
.long 0xD100003A, 0x013A7551
.long 0x24760882
.long 0xD1FE0039, 0x020A0903
.long 0xD1000039, 0x013A7351
.long 0xD1196A04, 0x00010700
.long 0xD0C9004A, 0x00003104
.long 0xD0C9004E, 0x00003301
.long 0x86CE4E4A
.long 0x924A02FF, 0x00000100
.long 0xD135003E, 0x00009504
.long 0x247C7C82
.long 0xD100003E, 0x013A7D51
.long 0x247E0882
.long 0xD1FE003D, 0x020A0903
.long 0xD100003D, 0x013A7B51
	;; [unrolled: 46-line block ×3, first 2 shown]
.long 0xD3D8400E, 0x180001E0
.long 0xD3D84014, 0x180001E4
	;; [unrolled: 1-line block ×16, first 2 shown]
.long 0xBF800001
.long 0x0A1C1C2C
	;; [unrolled: 1-line block ×18, first 2 shown]
.long 0xD0CC0034, 0x00010042
.long 0xD100000D, 0x00D21AF2
.long 0x0A1C1D0D
.long 0x02081D0C
.long 0xBEC81E3E
.long 0x7E1C0304
.long 0xE0701000, 0x80040E09
.long 0xD0CC0034, 0x00010042
.long 0xD1000013, 0x00D226F2
.long 0x0A282913
.long 0x02082912
.long 0xBEC81E3E
.long 0x7E280304
.long 0xE0701000, 0x8004140F
	;; [unrolled: 7-line block ×16, first 2 shown]
.long 0xBF800000
.long 0x7EA202FF, 0x80000000
.long 0xD1196A01, 0x00011B01
.long 0x924A8D26
.long 0xD1340002, 0x00009502
.long 0x924A8D24
.long 0xD1340003, 0x00009503
.long 0xD0C9004A, 0x00003100
.long 0xD0C9004E, 0x00003301
.long 0x86CE4E4A
.long 0x924A02FF, 0x00000100
.long 0xD135000A, 0x00009500
.long 0x24141482
.long 0xD100000A, 0x013A1551
.long 0xD86C0000, 0x0C00000A
.long 0x24160082
.long 0xE0501000, 0x80100D0B
.long 0xD1FE0009, 0x020A0103
.long 0xD1000009, 0x013A1351
.long 0xD1196A04, 0x00010300
.long 0xD0C9004A, 0x00003104
.long 0xD0C9004E, 0x00003301
.long 0x86CE4E4A
.long 0x924A02FF, 0x00000100
.long 0xD1350010, 0x00009504
.long 0x24202082
.long 0xD1000010, 0x013A2151
.long 0xD86C0000, 0x12000010
.long 0x24220882
.long 0xE0501000, 0x80101311
.long 0xD1FE000F, 0x020A0903
.long 0xD100000F, 0x013A1F51
	;; [unrolled: 13-line block ×4, first 2 shown]
.long 0xD1196A01, 0x00010301
.long 0xD1340002, 0x00004D02
.long 0xD1340003, 0x00004903
.long 0xD0C9004A, 0x00003100
.long 0xD0C9004E, 0x00003301
.long 0x86CE4E4A
.long 0x924A02FF, 0x00000100
.long 0xD1350022, 0x00009500
.long 0x24444482
.long 0xD1000022, 0x013A4551
.long 0x24460082
.long 0xD1FE0021, 0x020A0103
.long 0xD1000021, 0x013A4351
.long 0xD1196A04, 0x00010300
.long 0xD0C9004A, 0x00003104
.long 0xD0C9004E, 0x00003301
.long 0x86CE4E4A
.long 0x924A02FF, 0x00000100
.long 0xD1350026, 0x00009504
.long 0x244C4C82
.long 0xD1000026, 0x013A4D51
.long 0x244E0882
.long 0xD1FE0025, 0x020A0903
.long 0xD1000025, 0x013A4B51
.long 0xD1196A04, 0x00010500
.long 0xD0C9004A, 0x00003104
.long 0xD0C9004E, 0x00003301
.long 0x86CE4E4A
.long 0x924A02FF, 0x00000100
.long 0xD135002A, 0x00009504
.long 0x24545482
.long 0xD100002A, 0x013A5551
.long 0x24560882
.long 0xD1FE0029, 0x020A0903
.long 0xD1000029, 0x013A5351
.long 0xD1196A04, 0x00010700
.long 0xD0C9004A, 0x00003104
.long 0xD0C9004E, 0x00003301
.long 0x86CE4E4A
.long 0x924A02FF, 0x00000100
.long 0xD135002E, 0x00009504
.long 0x245C5C82
.long 0xD100002E, 0x013A5D51
.long 0x245E0882
.long 0xD1FE002D, 0x020A0903
.long 0xD100002D, 0x013A5B51
.long 0xD1196A01, 0x00010301
.long 0xD1340002, 0x00004D02
.long 0xD1340003, 0x00004903
.long 0xD0C9004A, 0x00003100
.long 0xD0C9004E, 0x00003301
.long 0x86CE4E4A
.long 0x924A02FF, 0x00000100
.long 0xD1350032, 0x00009500
.long 0x24646482
.long 0xD1000032, 0x013A6551
.long 0x24660082
.long 0xD1FE0031, 0x020A0103
.long 0xD1000031, 0x013A6351
.long 0xD1196A04, 0x00010300
.long 0xD0C9004A, 0x00003104
.long 0xD0C9004E, 0x00003301
.long 0x86CE4E4A
.long 0x924A02FF, 0x00000100
.long 0xD1350036, 0x00009504
.long 0x246C6C82
.long 0xD1000036, 0x013A6D51
.long 0x246E0882
.long 0xD1FE0035, 0x020A0903
.long 0xD1000035, 0x013A6B51
.long 0xD1196A04, 0x00010500
.long 0xD0C9004A, 0x00003104
.long 0xD0C9004E, 0x00003301
.long 0x86CE4E4A
.long 0x924A02FF, 0x00000100
.long 0xD135003A, 0x00009504
.long 0x24747482
.long 0xD100003A, 0x013A7551
.long 0x24760882
.long 0xD1FE0039, 0x020A0903
.long 0xD1000039, 0x013A7351
.long 0xD1196A04, 0x00010700
.long 0xD0C9004A, 0x00003104
.long 0xD0C9004E, 0x00003301
.long 0x86CE4E4A
.long 0x924A02FF, 0x00000100
.long 0xD135003E, 0x00009504
.long 0x247C7C82
.long 0xD100003E, 0x013A7D51
.long 0x247E0882
.long 0xD1FE003D, 0x020A0903
.long 0xD100003D, 0x013A7B51
	;; [unrolled: 46-line block ×3, first 2 shown]
.long 0xD3D8400E, 0x180001F0
.long 0xD3D84014, 0x180001F4
	;; [unrolled: 1-line block ×16, first 2 shown]
.long 0xBF800001
.long 0x0A1C1C2C
	;; [unrolled: 1-line block ×18, first 2 shown]
.long 0xD0CC0034, 0x00010042
.long 0xD100000D, 0x00D21AF2
.long 0x0A1C1D0D
.long 0x02081D0C
.long 0xBEC81E3E
.long 0x7E1C0304
.long 0xE0701000, 0x80040E09
.long 0xD0CC0034, 0x00010042
.long 0xD1000013, 0x00D226F2
.long 0x0A282913
.long 0x02082912
.long 0xBEC81E3E
.long 0x7E280304
.long 0xE0701000, 0x8004140F
.long 0xD0CC0034, 0x00010042
.long 0xD1000019, 0x00D232F2
.long 0x0A343519
.long 0x02083518
.long 0xBEC81E3E
.long 0x7E340304
.long 0xE0701000, 0x80041A15
.long 0xD0CC0034, 0x00010042
.long 0xD100001F, 0x00D23EF2
.long 0x0A40411F
.long 0x0208411E
.long 0xBEC81E3E
.long 0x7E400304
.long 0xE0701000, 0x8004201B
.long 0xD0CC0034, 0x00010042
.long 0xD100000D, 0x00D21AF2
.long 0x0A48490D
.long 0x0208490C
.long 0xBEC81E3E
.long 0x7E480304
.long 0xE0701000, 0x80042421
.long 0xD0CC0034, 0x00010042
.long 0xD1000013, 0x00D226F2
.long 0x0A505113
.long 0x02085112
.long 0xBEC81E3E
.long 0x7E500304
.long 0xE0701000, 0x80042825
.long 0xD0CC0034, 0x00010042
.long 0xD1000019, 0x00D232F2
.long 0x0A585919
.long 0x02085918
.long 0xBEC81E3E
.long 0x7E580304
.long 0xE0701000, 0x80042C29
.long 0xD0CC0034, 0x00010042
.long 0xD100001F, 0x00D23EF2
.long 0x0A60611F
.long 0x0208611E
.long 0xBEC81E3E
.long 0x7E600304
.long 0xE0701000, 0x8004302D
.long 0xD0CC0034, 0x00010042
.long 0xD100000D, 0x00D21AF2
.long 0x0A68690D
.long 0x0208690C
.long 0xBEC81E3E
.long 0x7E680304
.long 0xE0701000, 0x80043431
.long 0xD0CC0034, 0x00010042
.long 0xD1000013, 0x00D226F2
.long 0x0A707113
.long 0x02087112
.long 0xBEC81E3E
.long 0x7E700304
.long 0xE0701000, 0x80043835
.long 0xD0CC0034, 0x00010042
.long 0xD1000019, 0x00D232F2
.long 0x0A787919
.long 0x02087918
.long 0xBEC81E3E
.long 0x7E780304
.long 0xE0701000, 0x80043C39
.long 0xD0CC0034, 0x00010042
.long 0xD100001F, 0x00D23EF2
.long 0x0A80811F
.long 0x0208811E
.long 0xBEC81E3E
.long 0x7E800304
.long 0xE0701000, 0x8004403D
.long 0xD0CC0034, 0x00010042
.long 0xD100000D, 0x00D21AF2
.long 0x0A88890D
.long 0x0208890C
.long 0xBEC81E3E
.long 0x7E880304
.long 0xE0701000, 0x80044441
.long 0xD0CC0034, 0x00010042
.long 0xD1000013, 0x00D226F2
.long 0x0A909113
.long 0x02089112
.long 0xBEC81E3E
.long 0x7E900304
.long 0xE0701000, 0x80044845
.long 0xD0CC0034, 0x00010042
.long 0xD1000019, 0x00D232F2
.long 0x0A989919
.long 0x02089918
.long 0xBEC81E3E
.long 0x7E980304
.long 0xE0701000, 0x80044C49
.long 0xD0CC0034, 0x00010042
.long 0xD100001F, 0x00D23EF2
.long 0x0AA0A11F
.long 0x0208A11E
.long 0xBEC81E3E
.long 0x7EA00304
.long 0xE0701000, 0x8004504D
.long 0xBF800000
.long 0xBF823A8B
.long 0x864A18FF, 0x000000FF
.long 0x804B0DC1
.long 0xBF094B02
	;; [unrolled: 1-line block ×5, first 2 shown]
.long 0x864A19FF, 0x000000FF
.long 0x804B0EC1
.long 0xBF094B03
	;; [unrolled: 1-line block ×22, first 2 shown]
.long 0x810584FF, 0x0000E478
.long 0x803E053E
.long 0x823F803F
.long 0xBF820030
.long 0xBEBE1C00
.long 0x810584FF, 0x0000E464
.long 0x803E053E
.long 0x823F803F
.long 0xBF82002A
.long 0xBEBE1C00
	;; [unrolled: 5-line block ×8, first 2 shown]
.long 0x810584FF, 0x0000E6B8
.long 0x803E053E
.long 0x823F803F
	;; [unrolled: 1-line block ×3, first 2 shown]
.long 0xD1FE000A, 0x020A0102
.long 0xE05C1000, 0x8005100A
	;; [unrolled: 1-line block ×4, first 2 shown]
.long 0x24161682
.long 0xBF8CC07F
	;; [unrolled: 1-line block ×3, first 2 shown]
.long 0xD9FE0000, 0x1400000B
.long 0x24180082
.long 0xE05C1000, 0x8010180C
.long 0x8E4A8226
.long 0x80144A14
.long 0x82158015
.long 0xE05C1000, 0x8005200A
.long 0x8E4A8226
.long 0x80144A14
	;; [unrolled: 4-line block ×13, first 2 shown]
.long 0x82158015
.long 0xE05C1000, 0x8005800A
.long 0xD1FE0009, 0x020A0103
	;; [unrolled: 1-line block ×58, first 2 shown]
.long 0xBF800001
.long 0x0A38382C
	;; [unrolled: 1-line block ×58, first 2 shown]
.long 0xD0CC0034, 0x00010042
.long 0xD1000018, 0x00D230F2
	;; [unrolled: 1-line block ×14, first 2 shown]
.long 0xBEC81E3E
.long 0x7E380304
.long 0x7E3A0305
.long 0x7E3C0306
.long 0x7E3E0307
.long 0xE07C1000, 0x80041C09
.long 0xBF8C0F7D
.long 0xD0CC0034, 0x00010042
.long 0xD1000018, 0x00D230F2
.long 0xD1000019, 0x00D232F2
.long 0xD3B14024, 0x18024918
.long 0xD0CC0034, 0x00010042
.long 0xD100001A, 0x00D234F2
.long 0xD100001B, 0x00D236F2
.long 0xD3B14026, 0x18024D1A
.long 0xD13B0024, 0x00005B20
.long 0xD13B0025, 0x00005B21
.long 0xD13B0026, 0x00005B22
.long 0xD13B0027, 0x00005B23
.long 0xD3B24004, 0x18024914
.long 0xD3B24006, 0x18024D16
.long 0xBEC81E3E
.long 0x7E480304
.long 0x7E4A0305
.long 0x7E4C0306
.long 0x7E4E0307
.long 0x8E4A8224
.long 0x80104A10
.long 0x82118011
.long 0xE07C1000, 0x80042409
.long 0xBF8C0F7D
.long 0xD0CC0034, 0x00010042
.long 0xD1000018, 0x00D230F2
.long 0xD1000019, 0x00D232F2
.long 0xD3B1402C, 0x18025918
.long 0xD0CC0034, 0x00010042
.long 0xD100001A, 0x00D234F2
.long 0xD100001B, 0x00D236F2
.long 0xD3B1402E, 0x18025D1A
.long 0xD13B002C, 0x00005B28
.long 0xD13B002D, 0x00005B29
.long 0xD13B002E, 0x00005B2A
.long 0xD13B002F, 0x00005B2B
.long 0xD3B24004, 0x18025914
.long 0xD3B24006, 0x18025D16
.long 0xBEC81E3E
.long 0x7E580304
.long 0x7E5A0305
	;; [unrolled: 24-line block ×13, first 2 shown]
.long 0x7F0C0306
.long 0x7F0E0307
	;; [unrolled: 1-line block ×5, first 2 shown]
.long 0xE07C1000, 0x80048409
.long 0xBF800000
.long 0x8E4A8226
	;; [unrolled: 1-line block ×4, first 2 shown]
.long 0xE05C1000, 0x8005100A
.long 0x924A02FF, 0x00000100
	;; [unrolled: 1-line block ×3, first 2 shown]
.long 0x24161682
.long 0xD9FE0000, 0x1400000B
.long 0xE05C1000, 0x8010180C
.long 0x8E4A8226
.long 0x80144A14
.long 0x82158015
.long 0xE05C1000, 0x8005200A
.long 0x924AB426
.long 0x80144A14
.long 0x82158015
	;; [unrolled: 4-line block ×13, first 2 shown]
.long 0xE05C1000, 0x8005800A
.long 0xD3D8401C, 0x18000132
	;; [unrolled: 1-line block ×57, first 2 shown]
.long 0xBF800001
.long 0x0A38382C
	;; [unrolled: 1-line block ×58, first 2 shown]
.long 0xD0CC0034, 0x00010042
.long 0xD1000018, 0x00D230F2
.long 0xD1000019, 0x00D232F2
.long 0xD3B1401C, 0x18023918
.long 0xD0CC0034, 0x00010042
.long 0xD100001A, 0x00D234F2
.long 0xD100001B, 0x00D236F2
.long 0xD3B1401E, 0x18023D1A
.long 0xD13B001C, 0x00005B10
.long 0xD13B001D, 0x00005B11
.long 0xD13B001E, 0x00005B12
.long 0xD13B001F, 0x00005B13
.long 0xD3B24004, 0x18023914
.long 0xD3B24006, 0x18023D16
.long 0xBEC81E3E
.long 0x7E380304
.long 0x7E3A0305
.long 0x7E3C0306
.long 0x7E3E0307
.long 0x8E4A8224
.long 0x80104A10
.long 0x82118011
.long 0xE07C1000, 0x80041C09
.long 0xBF8C0F7D
.long 0xD0CC0034, 0x00010042
.long 0xD1000018, 0x00D230F2
.long 0xD1000019, 0x00D232F2
.long 0xD3B14024, 0x18024918
.long 0xD0CC0034, 0x00010042
.long 0xD100001A, 0x00D234F2
.long 0xD100001B, 0x00D236F2
.long 0xD3B14026, 0x18024D1A
.long 0xD13B0024, 0x00005B20
.long 0xD13B0025, 0x00005B21
.long 0xD13B0026, 0x00005B22
.long 0xD13B0027, 0x00005B23
.long 0xD3B24004, 0x18024914
.long 0xD3B24006, 0x18024D16
.long 0xBEC81E3E
.long 0x7E480304
.long 0x7E4A0305
.long 0x7E4C0306
.long 0x7E4E0307
.long 0x8E4A8224
.long 0x80104A10
.long 0x82118011
.long 0xE07C1000, 0x80042409
.long 0xBF8C0F7D
	;; [unrolled: 24-line block ×14, first 2 shown]
.long 0x924AB426
.long 0x80144A14
	;; [unrolled: 1-line block ×3, first 2 shown]
.long 0xE05C1000, 0x8005100A
.long 0x924A02FF, 0x00000100
	;; [unrolled: 1-line block ×3, first 2 shown]
.long 0x24161682
.long 0xD9FE0000, 0x1400000B
.long 0xE05C1000, 0x8010180C
.long 0x8E4A8226
.long 0x80144A14
.long 0x82158015
.long 0xE05C1000, 0x8005200A
.long 0x8E4A8226
.long 0x80144A14
.long 0x82158015
	;; [unrolled: 4-line block ×13, first 2 shown]
.long 0xE05C1000, 0x8005800A
.long 0xD3D8401C, 0x18000170
	;; [unrolled: 1-line block ×57, first 2 shown]
.long 0xBF800001
.long 0x0A38382C
	;; [unrolled: 1-line block ×58, first 2 shown]
.long 0xD0CC0034, 0x00010042
.long 0xD1000018, 0x00D230F2
.long 0xD1000019, 0x00D232F2
.long 0xD3B1401C, 0x18023918
.long 0xD0CC0034, 0x00010042
.long 0xD100001A, 0x00D234F2
.long 0xD100001B, 0x00D236F2
.long 0xD3B1401E, 0x18023D1A
.long 0xD13B001C, 0x00005B10
.long 0xD13B001D, 0x00005B11
.long 0xD13B001E, 0x00005B12
.long 0xD13B001F, 0x00005B13
.long 0xD3B24004, 0x18023914
.long 0xD3B24006, 0x18023D16
.long 0xBEC81E3E
.long 0x7E380304
.long 0x7E3A0305
.long 0x7E3C0306
.long 0x7E3E0307
.long 0x924AB424
.long 0x80104A10
.long 0x82118011
.long 0xE07C1000, 0x80041C09
.long 0xBF8C0F7D
.long 0xD0CC0034, 0x00010042
.long 0xD1000018, 0x00D230F2
.long 0xD1000019, 0x00D232F2
.long 0xD3B14024, 0x18024918
.long 0xD0CC0034, 0x00010042
.long 0xD100001A, 0x00D234F2
.long 0xD100001B, 0x00D236F2
.long 0xD3B14026, 0x18024D1A
.long 0xD13B0024, 0x00005B20
.long 0xD13B0025, 0x00005B21
.long 0xD13B0026, 0x00005B22
.long 0xD13B0027, 0x00005B23
.long 0xD3B24004, 0x18024914
.long 0xD3B24006, 0x18024D16
.long 0xBEC81E3E
.long 0x7E480304
.long 0x7E4A0305
.long 0x7E4C0306
.long 0x7E4E0307
.long 0x8E4A8224
.long 0x80104A10
.long 0x82118011
.long 0xE07C1000, 0x80042409
.long 0xBF8C0F7D
	;; [unrolled: 24-line block ×14, first 2 shown]
.long 0x8E4A8226
.long 0x80144A14
	;; [unrolled: 1-line block ×3, first 2 shown]
.long 0xE05C1000, 0x8005100A
.long 0x924A02FF, 0x00000100
	;; [unrolled: 1-line block ×3, first 2 shown]
.long 0x24161682
.long 0xD9FE0000, 0x1400000B
.long 0xE05C1000, 0x8010180C
.long 0x8E4A8226
.long 0x80144A14
.long 0x82158015
.long 0xE05C1000, 0x8005200A
.long 0x924AB426
.long 0x80144A14
.long 0x82158015
	;; [unrolled: 4-line block ×13, first 2 shown]
.long 0xE05C1000, 0x8005800A
.long 0xD3D8401C, 0x180001A2
	;; [unrolled: 1-line block ×57, first 2 shown]
.long 0xBF800001
.long 0x0A38382C
	;; [unrolled: 1-line block ×58, first 2 shown]
.long 0xD0CC0034, 0x00010042
.long 0xD1000018, 0x00D230F2
.long 0xD1000019, 0x00D232F2
.long 0xD3B1401C, 0x18023918
.long 0xD0CC0034, 0x00010042
.long 0xD100001A, 0x00D234F2
.long 0xD100001B, 0x00D236F2
.long 0xD3B1401E, 0x18023D1A
.long 0xD13B001C, 0x00005B10
.long 0xD13B001D, 0x00005B11
.long 0xD13B001E, 0x00005B12
.long 0xD13B001F, 0x00005B13
.long 0xD3B24004, 0x18023914
.long 0xD3B24006, 0x18023D16
.long 0xBEC81E3E
.long 0x7E380304
.long 0x7E3A0305
.long 0x7E3C0306
.long 0x7E3E0307
.long 0x8E4A8224
.long 0x80104A10
.long 0x82118011
.long 0xE07C1000, 0x80041C09
.long 0xBF8C0F7D
.long 0xD0CC0034, 0x00010042
.long 0xD1000018, 0x00D230F2
.long 0xD1000019, 0x00D232F2
.long 0xD3B14024, 0x18024918
.long 0xD0CC0034, 0x00010042
.long 0xD100001A, 0x00D234F2
.long 0xD100001B, 0x00D236F2
.long 0xD3B14026, 0x18024D1A
.long 0xD13B0024, 0x00005B20
.long 0xD13B0025, 0x00005B21
.long 0xD13B0026, 0x00005B22
.long 0xD13B0027, 0x00005B23
.long 0xD3B24004, 0x18024914
.long 0xD3B24006, 0x18024D16
.long 0xBEC81E3E
.long 0x7E480304
.long 0x7E4A0305
.long 0x7E4C0306
.long 0x7E4E0307
.long 0x8E4A8224
.long 0x80104A10
.long 0x82118011
.long 0xE07C1000, 0x80042409
.long 0xBF8C0F7D
	;; [unrolled: 24-line block ×14, first 2 shown]
.long 0x924AB426
.long 0x80144A14
	;; [unrolled: 1-line block ×3, first 2 shown]
.long 0xE05C1000, 0x8005100A
.long 0x924A02FF, 0x00000100
	;; [unrolled: 1-line block ×3, first 2 shown]
.long 0x24161682
.long 0xD9FE0000, 0x1400000B
.long 0xE05C1000, 0x8010180C
.long 0x8E4A8226
.long 0x80144A14
.long 0x82158015
.long 0xE05C1000, 0x8005200A
.long 0x8E4A8226
.long 0x80144A14
.long 0x82158015
	;; [unrolled: 4-line block ×7, first 2 shown]
.long 0xE05C1000, 0x8005500A
.long 0xD3D8401C, 0x180001E0
.long 0xD3D8401D, 0x180001E4
.long 0xD3D8401E, 0x180001E8
.long 0xD3D8401F, 0x180001EC
.long 0xD3D84024, 0x180001E1
.long 0xD3D84025, 0x180001E5
.long 0xD3D84026, 0x180001E9
.long 0xD3D84027, 0x180001ED
.long 0xD3D8402C, 0x180001E2
.long 0xD3D8402D, 0x180001E6
.long 0xD3D8402E, 0x180001EA
.long 0xD3D8402F, 0x180001EE
.long 0xD3D84034, 0x180001E3
.long 0xD3D84035, 0x180001E7
.long 0xD3D84036, 0x180001EB
.long 0xD3D84037, 0x180001EF
.long 0xD3D8403C, 0x180001F0
.long 0xD3D8403D, 0x180001F4
.long 0xD3D8403E, 0x180001F8
.long 0xD3D8403F, 0x180001FC
.long 0xD3D84044, 0x180001F1
.long 0xD3D84045, 0x180001F5
.long 0xD3D84046, 0x180001F9
.long 0xD3D84047, 0x180001FD
.long 0xD3D8404C, 0x180001F2
.long 0xD3D8404D, 0x180001F6
.long 0xD3D8404E, 0x180001FA
.long 0xD3D8404F, 0x180001FE
.long 0xD3D84054, 0x180001F3
.long 0xD3D84055, 0x180001F7
.long 0xD3D84056, 0x180001FB
.long 0xD3D84057, 0x180001FF
.long 0xBF800001
.long 0x0A38382C
	;; [unrolled: 1-line block ×34, first 2 shown]
.long 0xD0CC0034, 0x00010042
.long 0xD1000018, 0x00D230F2
.long 0xD1000019, 0x00D232F2
.long 0xD3B1401C, 0x18023918
.long 0xD0CC0034, 0x00010042
.long 0xD100001A, 0x00D234F2
.long 0xD100001B, 0x00D236F2
.long 0xD3B1401E, 0x18023D1A
.long 0xD13B001C, 0x00005B10
.long 0xD13B001D, 0x00005B11
.long 0xD13B001E, 0x00005B12
.long 0xD13B001F, 0x00005B13
.long 0xD3B24004, 0x18023914
.long 0xD3B24006, 0x18023D16
.long 0xBEC81E3E
.long 0x7E380304
.long 0x7E3A0305
.long 0x7E3C0306
.long 0x7E3E0307
.long 0x924AB424
.long 0x80104A10
.long 0x82118011
.long 0xE07C1000, 0x80041C09
.long 0xBF8C0F77
.long 0xD0CC0034, 0x00010042
.long 0xD1000018, 0x00D230F2
.long 0xD1000019, 0x00D232F2
.long 0xD3B14024, 0x18024918
.long 0xD0CC0034, 0x00010042
.long 0xD100001A, 0x00D234F2
.long 0xD100001B, 0x00D236F2
.long 0xD3B14026, 0x18024D1A
.long 0xD13B0024, 0x00005B20
.long 0xD13B0025, 0x00005B21
.long 0xD13B0026, 0x00005B22
.long 0xD13B0027, 0x00005B23
.long 0xD3B24004, 0x18024914
.long 0xD3B24006, 0x18024D16
.long 0xBEC81E3E
.long 0x7E480304
.long 0x7E4A0305
.long 0x7E4C0306
.long 0x7E4E0307
.long 0x8E4A8224
.long 0x80104A10
.long 0x82118011
.long 0xE07C1000, 0x80042409
.long 0xBF8C0F77
	;; [unrolled: 24-line block ×8, first 2 shown]
.long 0xBF822BFE
.long 0xB43C0001
	;; [unrolled: 1-line block ×18, first 2 shown]
.long 0x810584FF, 0x0000AE90
.long 0x803E053E
.long 0x823F803F
.long 0xBF820030
.long 0xBEBE1C00
.long 0x810584FF, 0x0000AE7C
.long 0x803E053E
.long 0x823F803F
.long 0xBF82002A
.long 0xBEBE1C00
	;; [unrolled: 5-line block ×8, first 2 shown]
.long 0x810584FF, 0x0000AEA8
.long 0x803E053E
.long 0x823F803F
	;; [unrolled: 1-line block ×3, first 2 shown]
.long 0x7EC202FF, 0x80000000
.long 0xD0C9004A, 0x00003100
.long 0xD0C9004E, 0x00003301
.long 0x86CE4E4A
.long 0xD1FE0009, 0x020A0102
.long 0xD1000009, 0x013A1361
	;; [unrolled: 1-line block ×5, first 2 shown]
.long 0x24141482
.long 0xD100000A, 0x013A1561
.long 0xBF8CC07F
.long 0xBF8A0000
.long 0xD86C0000, 0x0D00000A
.long 0x24160082
.long 0xE0501000, 0x80100E0B
.long 0xD1FE0009, 0x020A0103
.long 0xD1000009, 0x013A1361
.long 0xD1196A04, 0x00010300
.long 0xD0C9004A, 0x00003104
.long 0xD0C9004E, 0x00003301
.long 0x86CE4E4A
.long 0xD1FE0010, 0x020A0902
.long 0xD1000010, 0x013A2161
.long 0xE0501000, 0x80051310
.long 0x924A02FF, 0x00000100
.long 0xD1350011, 0x00009504
.long 0x24222282
.long 0xD1000011, 0x013A2361
.long 0xD86C0000, 0x14000011
.long 0x24240882
.long 0xE0501000, 0x80101512
.long 0xD1FE0010, 0x020A0903
.long 0xD1000010, 0x013A2161
.long 0xD1196A04, 0x00010500
.long 0xD0C9004A, 0x00003104
.long 0xD0C9004E, 0x00003301
.long 0x86CE4E4A
.long 0xD1FE0017, 0x020A0902
.long 0xD1000017, 0x013A2F61
.long 0xE0501000, 0x80051A17
.long 0x924A02FF, 0x00000100
.long 0xD1350018, 0x00009504
.long 0x24303082
.long 0xD1000018, 0x013A3161
.long 0xD86C0000, 0x1B000018
.long 0x24320882
.long 0xE0501000, 0x80101C19
.long 0xD1FE0017, 0x020A0903
.long 0xD1000017, 0x013A2F61
.long 0xD1196A04, 0x00010700
.long 0xD0C9004A, 0x00003104
.long 0xD0C9004E, 0x00003301
.long 0x86CE4E4A
.long 0xD1FE001E, 0x020A0902
.long 0xD100001E, 0x013A3D61
.long 0xE0501000, 0x8005211E
.long 0x924A02FF, 0x00000100
.long 0xD135001F, 0x00009504
.long 0x243E3E82
.long 0xD100001F, 0x013A3F61
.long 0xD86C0000, 0x2200001F
.long 0x24400882
.long 0xE0501000, 0x80102320
.long 0xD1FE001E, 0x020A0903
	;; [unrolled: 1-line block ×8, first 2 shown]
.long 0x86CE4E4A
.long 0xD1FE0025, 0x020A0102
.long 0xD1000025, 0x013A4B61
.long 0xE0501000, 0x80052825
.long 0x924A02FF, 0x00000100
.long 0xD1350026, 0x00009500
.long 0x244C4C82
.long 0xD1000026, 0x013A4D61
.long 0x244E0082
.long 0xD1FE0025, 0x020A0103
.long 0xD1000025, 0x013A4B61
.long 0xD1196A04, 0x00010300
.long 0xD0C9004A, 0x00003104
.long 0xD0C9004E, 0x00003301
.long 0x86CE4E4A
.long 0xD1FE002A, 0x020A0902
.long 0xD100002A, 0x013A5561
.long 0xE0501000, 0x80052D2A
.long 0x924A02FF, 0x00000100
.long 0xD135002B, 0x00009504
.long 0x24565682
.long 0xD100002B, 0x013A5761
.long 0x24580882
.long 0xD1FE002A, 0x020A0903
.long 0xD100002A, 0x013A5561
.long 0xD1196A04, 0x00010500
.long 0xD0C9004A, 0x00003104
.long 0xD0C9004E, 0x00003301
.long 0x86CE4E4A
.long 0xD1FE002F, 0x020A0902
.long 0xD100002F, 0x013A5F61
.long 0xE0501000, 0x8005322F
.long 0x924A02FF, 0x00000100
.long 0xD1350030, 0x00009504
.long 0x24606082
.long 0xD1000030, 0x013A6161
.long 0x24620882
.long 0xD1FE002F, 0x020A0903
.long 0xD100002F, 0x013A5F61
.long 0xD1196A04, 0x00010700
.long 0xD0C9004A, 0x00003104
.long 0xD0C9004E, 0x00003301
.long 0x86CE4E4A
.long 0xD1FE0034, 0x020A0902
.long 0xD1000034, 0x013A6961
.long 0xE0501000, 0x80053734
.long 0x924A02FF, 0x00000100
.long 0xD1350035, 0x00009504
.long 0x246A6A82
.long 0xD1000035, 0x013A6B61
.long 0x246C0882
.long 0xD1FE0034, 0x020A0903
.long 0xD1000034, 0x013A6961
.long 0xD1196A01, 0x00010301
.long 0xD1340002, 0x00004D02
.long 0xD1340003, 0x00004903
.long 0xD0C9004A, 0x00003100
.long 0xD0C9004E, 0x00003301
.long 0x86CE4E4A
.long 0xD1FE0039, 0x020A0102
.long 0xD1000039, 0x013A7361
.long 0xE0501000, 0x80053C39
.long 0x924A02FF, 0x00000100
.long 0xD135003A, 0x00009500
.long 0x24747482
.long 0xD100003A, 0x013A7561
.long 0x24760082
.long 0xD1FE0039, 0x020A0103
.long 0xD1000039, 0x013A7361
.long 0xD1196A04, 0x00010300
.long 0xD0C9004A, 0x00003104
.long 0xD0C9004E, 0x00003301
.long 0x86CE4E4A
.long 0xD1FE003E, 0x020A0902
.long 0xD100003E, 0x013A7D61
.long 0xE0501000, 0x8005413E
.long 0x924A02FF, 0x00000100
.long 0xD135003F, 0x00009504
.long 0x247E7E82
.long 0xD100003F, 0x013A7F61
.long 0x24800882
.long 0xD1FE003E, 0x020A0903
.long 0xD100003E, 0x013A7D61
.long 0xD1196A04, 0x00010500
.long 0xD0C9004A, 0x00003104
.long 0xD0C9004E, 0x00003301
.long 0x86CE4E4A
.long 0xD1FE0043, 0x020A0902
.long 0xD1000043, 0x013A8761
.long 0xE0501000, 0x80054643
.long 0x924A02FF, 0x00000100
.long 0xD1350044, 0x00009504
.long 0x24888882
.long 0xD1000044, 0x013A8961
.long 0x248A0882
.long 0xD1FE0043, 0x020A0903
.long 0xD1000043, 0x013A8761
.long 0xD1196A04, 0x00010700
.long 0xD0C9004A, 0x00003104
.long 0xD0C9004E, 0x00003301
.long 0x86CE4E4A
.long 0xD1FE0048, 0x020A0902
.long 0xD1000048, 0x013A9161
.long 0xE0501000, 0x80054B48
.long 0x924A02FF, 0x00000100
.long 0xD1350049, 0x00009504
.long 0x24929282
.long 0xD1000049, 0x013A9361
.long 0x24940882
.long 0xD1FE0048, 0x020A0903
.long 0xD1000048, 0x013A9161
.long 0xD1196A01, 0x00010301
.long 0xD1340002, 0x00004D02
.long 0xD1340003, 0x00004903
.long 0xD0C9004A, 0x00003100
.long 0xD0C9004E, 0x00003301
	;; [unrolled: 58-line block ×3, first 2 shown]
.long 0xD3D8402E, 0x18000105
.long 0xD3D84033, 0x18000109
	;; [unrolled: 1-line block ×11, first 2 shown]
.long 0xBF800001
.long 0x0A1E1E2C
	;; [unrolled: 1-line block ×18, first 2 shown]
.long 0xD0CC0034, 0x00010042
.long 0xD100000E, 0x00D21CF2
.long 0x0A1E1F0E
.long 0xD13B000F, 0x00005B0C
.long 0x02081F0D
.long 0xBEC81E3E
.long 0x7E1E0304
.long 0xE0701000, 0x80040F09
.long 0xD0CC0034, 0x00010042
.long 0xD1000015, 0x00D22AF2
.long 0x0A2C2D15
.long 0xD13B0016, 0x00005B13
.long 0x02082D14
.long 0xBEC81E3E
.long 0x7E2C0304
.long 0xE0701000, 0x80041610
	;; [unrolled: 8-line block ×16, first 2 shown]
.long 0xBF800000
.long 0x7EC202FF, 0x80000000
.long 0xD1196A01, 0x00011B01
.long 0x924A8D26
.long 0xD1340002, 0x00009502
.long 0x924A8D24
.long 0xD1340003, 0x00009503
.long 0xD0C9004A, 0x00003100
.long 0xD0C9004E, 0x00003301
.long 0x86CE4E4A
.long 0xD1FE0009, 0x020A0102
.long 0xD1000009, 0x013A1361
.long 0xE0501000, 0x80050C09
.long 0x924A02FF, 0x00000100
.long 0xD135000A, 0x00009500
.long 0x24141482
.long 0xD100000A, 0x013A1561
.long 0xD86C0000, 0x0D00000A
.long 0x24160082
.long 0xE0501000, 0x80100E0B
.long 0xD1FE0009, 0x020A0103
.long 0xD1000009, 0x013A1361
.long 0xD1196A04, 0x00010300
.long 0xD0C9004A, 0x00003104
.long 0xD0C9004E, 0x00003301
.long 0x86CE4E4A
.long 0xD1FE0010, 0x020A0902
.long 0xD1000010, 0x013A2161
.long 0xE0501000, 0x80051310
.long 0x924A02FF, 0x00000100
.long 0xD1350011, 0x00009504
.long 0x24222282
.long 0xD1000011, 0x013A2361
.long 0xD86C0000, 0x14000011
.long 0x24240882
.long 0xE0501000, 0x80101512
.long 0xD1FE0010, 0x020A0903
.long 0xD1000010, 0x013A2161
	;; [unrolled: 16-line block ×4, first 2 shown]
.long 0xD1196A01, 0x00010301
.long 0xD1340002, 0x00004D02
.long 0xD1340003, 0x00004903
.long 0xD0C9004A, 0x00003100
.long 0xD0C9004E, 0x00003301
.long 0x86CE4E4A
.long 0xD1FE0025, 0x020A0102
.long 0xD1000025, 0x013A4B61
.long 0xE0501000, 0x80052825
.long 0x924A02FF, 0x00000100
.long 0xD1350026, 0x00009500
.long 0x244C4C82
.long 0xD1000026, 0x013A4D61
.long 0x244E0082
.long 0xD1FE0025, 0x020A0103
.long 0xD1000025, 0x013A4B61
.long 0xD1196A04, 0x00010300
.long 0xD0C9004A, 0x00003104
.long 0xD0C9004E, 0x00003301
.long 0x86CE4E4A
.long 0xD1FE002A, 0x020A0902
.long 0xD100002A, 0x013A5561
.long 0xE0501000, 0x80052D2A
.long 0x924A02FF, 0x00000100
.long 0xD135002B, 0x00009504
.long 0x24565682
.long 0xD100002B, 0x013A5761
.long 0x24580882
.long 0xD1FE002A, 0x020A0903
.long 0xD100002A, 0x013A5561
.long 0xD1196A04, 0x00010500
.long 0xD0C9004A, 0x00003104
.long 0xD0C9004E, 0x00003301
.long 0x86CE4E4A
.long 0xD1FE002F, 0x020A0902
.long 0xD100002F, 0x013A5F61
.long 0xE0501000, 0x8005322F
.long 0x924A02FF, 0x00000100
.long 0xD1350030, 0x00009504
.long 0x24606082
.long 0xD1000030, 0x013A6161
.long 0x24620882
.long 0xD1FE002F, 0x020A0903
.long 0xD100002F, 0x013A5F61
.long 0xD1196A04, 0x00010700
.long 0xD0C9004A, 0x00003104
.long 0xD0C9004E, 0x00003301
.long 0x86CE4E4A
.long 0xD1FE0034, 0x020A0902
.long 0xD1000034, 0x013A6961
.long 0xE0501000, 0x80053734
.long 0x924A02FF, 0x00000100
.long 0xD1350035, 0x00009504
.long 0x246A6A82
.long 0xD1000035, 0x013A6B61
.long 0x246C0882
.long 0xD1FE0034, 0x020A0903
.long 0xD1000034, 0x013A6961
.long 0xD1196A01, 0x00010301
.long 0xD1340002, 0x00004D02
.long 0xD1340003, 0x00004903
.long 0xD0C9004A, 0x00003100
.long 0xD0C9004E, 0x00003301
.long 0x86CE4E4A
.long 0xD1FE0039, 0x020A0102
.long 0xD1000039, 0x013A7361
.long 0xE0501000, 0x80053C39
.long 0x924A02FF, 0x00000100
.long 0xD135003A, 0x00009500
.long 0x24747482
.long 0xD100003A, 0x013A7561
.long 0x24760082
.long 0xD1FE0039, 0x020A0103
.long 0xD1000039, 0x013A7361
.long 0xD1196A04, 0x00010300
.long 0xD0C9004A, 0x00003104
.long 0xD0C9004E, 0x00003301
.long 0x86CE4E4A
.long 0xD1FE003E, 0x020A0902
.long 0xD100003E, 0x013A7D61
.long 0xE0501000, 0x8005413E
.long 0x924A02FF, 0x00000100
.long 0xD135003F, 0x00009504
.long 0x247E7E82
.long 0xD100003F, 0x013A7F61
.long 0x24800882
.long 0xD1FE003E, 0x020A0903
.long 0xD100003E, 0x013A7D61
.long 0xD1196A04, 0x00010500
.long 0xD0C9004A, 0x00003104
.long 0xD0C9004E, 0x00003301
.long 0x86CE4E4A
.long 0xD1FE0043, 0x020A0902
.long 0xD1000043, 0x013A8761
.long 0xE0501000, 0x80054643
.long 0x924A02FF, 0x00000100
.long 0xD1350044, 0x00009504
.long 0x24888882
.long 0xD1000044, 0x013A8961
.long 0x248A0882
.long 0xD1FE0043, 0x020A0903
.long 0xD1000043, 0x013A8761
.long 0xD1196A04, 0x00010700
.long 0xD0C9004A, 0x00003104
.long 0xD0C9004E, 0x00003301
.long 0x86CE4E4A
.long 0xD1FE0048, 0x020A0902
.long 0xD1000048, 0x013A9161
.long 0xE0501000, 0x80054B48
.long 0x924A02FF, 0x00000100
.long 0xD1350049, 0x00009504
.long 0x24929282
.long 0xD1000049, 0x013A9361
.long 0x24940882
.long 0xD1FE0048, 0x020A0903
.long 0xD1000048, 0x013A9161
	;; [unrolled: 58-line block ×3, first 2 shown]
.long 0xD3D8400F, 0x18000110
.long 0xD3D84016, 0x18000114
	;; [unrolled: 1-line block ×16, first 2 shown]
.long 0xBF800001
.long 0x0A1E1E2C
	;; [unrolled: 1-line block ×18, first 2 shown]
.long 0xD0CC0034, 0x00010042
.long 0xD100000E, 0x00D21CF2
.long 0x0A1E1F0E
.long 0xD13B000F, 0x00005B0C
.long 0x02081F0D
.long 0xBEC81E3E
.long 0x7E1E0304
.long 0xE0701000, 0x80040F09
.long 0xD0CC0034, 0x00010042
.long 0xD1000015, 0x00D22AF2
.long 0x0A2C2D15
.long 0xD13B0016, 0x00005B13
.long 0x02082D14
.long 0xBEC81E3E
.long 0x7E2C0304
.long 0xE0701000, 0x80041610
	;; [unrolled: 8-line block ×16, first 2 shown]
.long 0xBF800000
.long 0x7EC202FF, 0x80000000
.long 0xD1196A01, 0x00011B01
.long 0x924A8D26
.long 0xD1340002, 0x00009502
.long 0x924A8D24
.long 0xD1340003, 0x00009503
.long 0xD0C9004A, 0x00003100
.long 0xD0C9004E, 0x00003301
.long 0x86CE4E4A
.long 0xD1FE0009, 0x020A0102
.long 0xD1000009, 0x013A1361
.long 0xE0501000, 0x80050C09
.long 0x924A02FF, 0x00000100
.long 0xD135000A, 0x00009500
.long 0x24141482
.long 0xD100000A, 0x013A1561
.long 0xD86C0000, 0x0D00000A
.long 0x24160082
.long 0xE0501000, 0x80100E0B
.long 0xD1FE0009, 0x020A0103
.long 0xD1000009, 0x013A1361
.long 0xD1196A04, 0x00010300
.long 0xD0C9004A, 0x00003104
.long 0xD0C9004E, 0x00003301
.long 0x86CE4E4A
.long 0xD1FE0010, 0x020A0902
.long 0xD1000010, 0x013A2161
.long 0xE0501000, 0x80051310
.long 0x924A02FF, 0x00000100
.long 0xD1350011, 0x00009504
.long 0x24222282
.long 0xD1000011, 0x013A2361
.long 0xD86C0000, 0x14000011
.long 0x24240882
.long 0xE0501000, 0x80101512
.long 0xD1FE0010, 0x020A0903
.long 0xD1000010, 0x013A2161
	;; [unrolled: 16-line block ×4, first 2 shown]
.long 0xD1196A01, 0x00010301
.long 0xD1340002, 0x00004D02
.long 0xD1340003, 0x00004903
.long 0xD0C9004A, 0x00003100
.long 0xD0C9004E, 0x00003301
.long 0x86CE4E4A
.long 0xD1FE0025, 0x020A0102
.long 0xD1000025, 0x013A4B61
.long 0xE0501000, 0x80052825
.long 0x924A02FF, 0x00000100
.long 0xD1350026, 0x00009500
.long 0x244C4C82
.long 0xD1000026, 0x013A4D61
.long 0x244E0082
.long 0xD1FE0025, 0x020A0103
.long 0xD1000025, 0x013A4B61
.long 0xD1196A04, 0x00010300
.long 0xD0C9004A, 0x00003104
.long 0xD0C9004E, 0x00003301
.long 0x86CE4E4A
.long 0xD1FE002A, 0x020A0902
.long 0xD100002A, 0x013A5561
.long 0xE0501000, 0x80052D2A
.long 0x924A02FF, 0x00000100
.long 0xD135002B, 0x00009504
.long 0x24565682
.long 0xD100002B, 0x013A5761
.long 0x24580882
.long 0xD1FE002A, 0x020A0903
.long 0xD100002A, 0x013A5561
.long 0xD1196A04, 0x00010500
.long 0xD0C9004A, 0x00003104
.long 0xD0C9004E, 0x00003301
.long 0x86CE4E4A
.long 0xD1FE002F, 0x020A0902
.long 0xD100002F, 0x013A5F61
.long 0xE0501000, 0x8005322F
.long 0x924A02FF, 0x00000100
.long 0xD1350030, 0x00009504
.long 0x24606082
.long 0xD1000030, 0x013A6161
.long 0x24620882
.long 0xD1FE002F, 0x020A0903
.long 0xD100002F, 0x013A5F61
.long 0xD1196A04, 0x00010700
.long 0xD0C9004A, 0x00003104
.long 0xD0C9004E, 0x00003301
.long 0x86CE4E4A
.long 0xD1FE0034, 0x020A0902
.long 0xD1000034, 0x013A6961
.long 0xE0501000, 0x80053734
.long 0x924A02FF, 0x00000100
.long 0xD1350035, 0x00009504
.long 0x246A6A82
.long 0xD1000035, 0x013A6B61
.long 0x246C0882
.long 0xD1FE0034, 0x020A0903
.long 0xD1000034, 0x013A6961
.long 0xD1196A01, 0x00010301
.long 0xD1340002, 0x00004D02
.long 0xD1340003, 0x00004903
.long 0xD0C9004A, 0x00003100
.long 0xD0C9004E, 0x00003301
.long 0x86CE4E4A
.long 0xD1FE0039, 0x020A0102
.long 0xD1000039, 0x013A7361
.long 0xE0501000, 0x80053C39
.long 0x924A02FF, 0x00000100
.long 0xD135003A, 0x00009500
.long 0x24747482
.long 0xD100003A, 0x013A7561
.long 0x24760082
.long 0xD1FE0039, 0x020A0103
.long 0xD1000039, 0x013A7361
.long 0xD1196A04, 0x00010300
.long 0xD0C9004A, 0x00003104
.long 0xD0C9004E, 0x00003301
.long 0x86CE4E4A
.long 0xD1FE003E, 0x020A0902
.long 0xD100003E, 0x013A7D61
.long 0xE0501000, 0x8005413E
.long 0x924A02FF, 0x00000100
.long 0xD135003F, 0x00009504
.long 0x247E7E82
.long 0xD100003F, 0x013A7F61
.long 0x24800882
.long 0xD1FE003E, 0x020A0903
.long 0xD100003E, 0x013A7D61
.long 0xD1196A04, 0x00010500
.long 0xD0C9004A, 0x00003104
.long 0xD0C9004E, 0x00003301
.long 0x86CE4E4A
.long 0xD1FE0043, 0x020A0902
.long 0xD1000043, 0x013A8761
.long 0xE0501000, 0x80054643
.long 0x924A02FF, 0x00000100
.long 0xD1350044, 0x00009504
.long 0x24888882
.long 0xD1000044, 0x013A8961
.long 0x248A0882
.long 0xD1FE0043, 0x020A0903
.long 0xD1000043, 0x013A8761
.long 0xD1196A04, 0x00010700
.long 0xD0C9004A, 0x00003104
.long 0xD0C9004E, 0x00003301
.long 0x86CE4E4A
.long 0xD1FE0048, 0x020A0902
.long 0xD1000048, 0x013A9161
.long 0xE0501000, 0x80054B48
.long 0x924A02FF, 0x00000100
.long 0xD1350049, 0x00009504
.long 0x24929282
.long 0xD1000049, 0x013A9361
.long 0x24940882
.long 0xD1FE0048, 0x020A0903
.long 0xD1000048, 0x013A9161
	;; [unrolled: 58-line block ×3, first 2 shown]
.long 0xD3D8400F, 0x18000120
.long 0xD3D84016, 0x18000124
	;; [unrolled: 1-line block ×16, first 2 shown]
.long 0xBF800001
.long 0x0A1E1E2C
	;; [unrolled: 1-line block ×18, first 2 shown]
.long 0xD0CC0034, 0x00010042
.long 0xD100000E, 0x00D21CF2
.long 0x0A1E1F0E
.long 0xD13B000F, 0x00005B0C
.long 0x02081F0D
.long 0xBEC81E3E
.long 0x7E1E0304
.long 0xE0701000, 0x80040F09
.long 0xD0CC0034, 0x00010042
.long 0xD1000015, 0x00D22AF2
.long 0x0A2C2D15
.long 0xD13B0016, 0x00005B13
.long 0x02082D14
.long 0xBEC81E3E
.long 0x7E2C0304
.long 0xE0701000, 0x80041610
.long 0xD0CC0034, 0x00010042
.long 0xD100001C, 0x00D238F2
.long 0x0A3A3B1C
.long 0xD13B001D, 0x00005B1A
.long 0x02083B1B
.long 0xBEC81E3E
.long 0x7E3A0304
.long 0xE0701000, 0x80041D17
.long 0xD0CC0034, 0x00010042
.long 0xD1000023, 0x00D246F2
.long 0x0A484923
.long 0xD13B0024, 0x00005B21
.long 0x02084922
.long 0xBEC81E3E
.long 0x7E480304
.long 0xE0701000, 0x8004241E
.long 0xD0CC0034, 0x00010042
.long 0xD100000E, 0x00D21CF2
.long 0x0A52530E
.long 0xD13B0029, 0x00005B28
.long 0x0208530D
.long 0xBEC81E3E
.long 0x7E520304
.long 0xE0701000, 0x80042925
.long 0xD0CC0034, 0x00010042
.long 0xD1000015, 0x00D22AF2
.long 0x0A5C5D15
.long 0xD13B002E, 0x00005B2D
.long 0x02085D14
.long 0xBEC81E3E
.long 0x7E5C0304
.long 0xE0701000, 0x80042E2A
.long 0xD0CC0034, 0x00010042
.long 0xD100001C, 0x00D238F2
.long 0x0A66671C
.long 0xD13B0033, 0x00005B32
.long 0x0208671B
.long 0xBEC81E3E
.long 0x7E660304
.long 0xE0701000, 0x8004332F
.long 0xD0CC0034, 0x00010042
.long 0xD1000023, 0x00D246F2
.long 0x0A707123
.long 0xD13B0038, 0x00005B37
.long 0x02087122
.long 0xBEC81E3E
.long 0x7E700304
.long 0xE0701000, 0x80043834
.long 0xD0CC0034, 0x00010042
.long 0xD100000E, 0x00D21CF2
.long 0x0A7A7B0E
.long 0xD13B003D, 0x00005B3C
.long 0x02087B0D
.long 0xBEC81E3E
.long 0x7E7A0304
.long 0xE0701000, 0x80043D39
.long 0xD0CC0034, 0x00010042
.long 0xD1000015, 0x00D22AF2
.long 0x0A848515
.long 0xD13B0042, 0x00005B41
.long 0x02088514
.long 0xBEC81E3E
.long 0x7E840304
.long 0xE0701000, 0x8004423E
.long 0xD0CC0034, 0x00010042
.long 0xD100001C, 0x00D238F2
.long 0x0A8E8F1C
.long 0xD13B0047, 0x00005B46
.long 0x02088F1B
.long 0xBEC81E3E
.long 0x7E8E0304
.long 0xE0701000, 0x80044743
.long 0xD0CC0034, 0x00010042
.long 0xD1000023, 0x00D246F2
.long 0x0A989923
.long 0xD13B004C, 0x00005B4B
.long 0x02089922
.long 0xBEC81E3E
.long 0x7E980304
.long 0xE0701000, 0x80044C48
.long 0xD0CC0034, 0x00010042
.long 0xD100000E, 0x00D21CF2
.long 0x0AA2A30E
.long 0xD13B0051, 0x00005B50
.long 0x0208A30D
.long 0xBEC81E3E
.long 0x7EA20304
.long 0xE0701000, 0x8004514D
.long 0xD0CC0034, 0x00010042
.long 0xD1000015, 0x00D22AF2
.long 0x0AACAD15
.long 0xD13B0056, 0x00005B55
.long 0x0208AD14
.long 0xBEC81E3E
.long 0x7EAC0304
.long 0xE0701000, 0x80045652
.long 0xD0CC0034, 0x00010042
.long 0xD100001C, 0x00D238F2
.long 0x0AB6B71C
.long 0xD13B005B, 0x00005B5A
.long 0x0208B71B
.long 0xBEC81E3E
.long 0x7EB60304
.long 0xE0701000, 0x80045B57
.long 0xD0CC0034, 0x00010042
.long 0xD1000023, 0x00D246F2
.long 0x0AC0C123
.long 0xD13B0060, 0x00005B5F
.long 0x0208C122
.long 0xBEC81E3E
.long 0x7EC00304
.long 0xE0701000, 0x8004605C
.long 0xBF800000
.long 0x7EC202FF, 0x80000000
.long 0xD1196A01, 0x00011B01
.long 0x924A8D26
.long 0xD1340002, 0x00009502
.long 0x924A8D24
.long 0xD1340003, 0x00009503
.long 0xD0C9004A, 0x00003100
.long 0xD0C9004E, 0x00003301
.long 0x86CE4E4A
.long 0xD1FE0009, 0x020A0102
.long 0xD1000009, 0x013A1361
.long 0xE0501000, 0x80050C09
.long 0x924A02FF, 0x00000100
.long 0xD135000A, 0x00009500
.long 0x24141482
.long 0xD100000A, 0x013A1561
.long 0xD86C0000, 0x0D00000A
.long 0x24160082
.long 0xE0501000, 0x80100E0B
.long 0xD1FE0009, 0x020A0103
.long 0xD1000009, 0x013A1361
.long 0xD1196A04, 0x00010300
.long 0xD0C9004A, 0x00003104
.long 0xD0C9004E, 0x00003301
.long 0x86CE4E4A
.long 0xD1FE0010, 0x020A0902
.long 0xD1000010, 0x013A2161
.long 0xE0501000, 0x80051310
.long 0x924A02FF, 0x00000100
.long 0xD1350011, 0x00009504
.long 0x24222282
.long 0xD1000011, 0x013A2361
.long 0xD86C0000, 0x14000011
.long 0x24240882
.long 0xE0501000, 0x80101512
.long 0xD1FE0010, 0x020A0903
.long 0xD1000010, 0x013A2161
	;; [unrolled: 16-line block ×4, first 2 shown]
.long 0xD1196A01, 0x00010301
.long 0xD1340002, 0x00004D02
.long 0xD1340003, 0x00004903
.long 0xD0C9004A, 0x00003100
.long 0xD0C9004E, 0x00003301
.long 0x86CE4E4A
.long 0xD1FE0025, 0x020A0102
.long 0xD1000025, 0x013A4B61
.long 0xE0501000, 0x80052825
.long 0x924A02FF, 0x00000100
.long 0xD1350026, 0x00009500
.long 0x244C4C82
.long 0xD1000026, 0x013A4D61
.long 0x244E0082
.long 0xD1FE0025, 0x020A0103
.long 0xD1000025, 0x013A4B61
.long 0xD1196A04, 0x00010300
.long 0xD0C9004A, 0x00003104
.long 0xD0C9004E, 0x00003301
.long 0x86CE4E4A
.long 0xD1FE002A, 0x020A0902
.long 0xD100002A, 0x013A5561
.long 0xE0501000, 0x80052D2A
.long 0x924A02FF, 0x00000100
.long 0xD135002B, 0x00009504
.long 0x24565682
.long 0xD100002B, 0x013A5761
.long 0x24580882
.long 0xD1FE002A, 0x020A0903
.long 0xD100002A, 0x013A5561
.long 0xD1196A04, 0x00010500
.long 0xD0C9004A, 0x00003104
.long 0xD0C9004E, 0x00003301
.long 0x86CE4E4A
.long 0xD1FE002F, 0x020A0902
.long 0xD100002F, 0x013A5F61
.long 0xE0501000, 0x8005322F
.long 0x924A02FF, 0x00000100
.long 0xD1350030, 0x00009504
.long 0x24606082
.long 0xD1000030, 0x013A6161
.long 0x24620882
.long 0xD1FE002F, 0x020A0903
.long 0xD100002F, 0x013A5F61
.long 0xD1196A04, 0x00010700
.long 0xD0C9004A, 0x00003104
.long 0xD0C9004E, 0x00003301
.long 0x86CE4E4A
.long 0xD1FE0034, 0x020A0902
.long 0xD1000034, 0x013A6961
.long 0xE0501000, 0x80053734
.long 0x924A02FF, 0x00000100
.long 0xD1350035, 0x00009504
.long 0x246A6A82
.long 0xD1000035, 0x013A6B61
.long 0x246C0882
.long 0xD1FE0034, 0x020A0903
.long 0xD1000034, 0x013A6961
.long 0xD1196A01, 0x00010301
.long 0xD1340002, 0x00004D02
.long 0xD1340003, 0x00004903
.long 0xD0C9004A, 0x00003100
.long 0xD0C9004E, 0x00003301
.long 0x86CE4E4A
.long 0xD1FE0039, 0x020A0102
.long 0xD1000039, 0x013A7361
.long 0xE0501000, 0x80053C39
.long 0x924A02FF, 0x00000100
.long 0xD135003A, 0x00009500
.long 0x24747482
.long 0xD100003A, 0x013A7561
.long 0x24760082
.long 0xD1FE0039, 0x020A0103
.long 0xD1000039, 0x013A7361
.long 0xD1196A04, 0x00010300
.long 0xD0C9004A, 0x00003104
.long 0xD0C9004E, 0x00003301
.long 0x86CE4E4A
.long 0xD1FE003E, 0x020A0902
.long 0xD100003E, 0x013A7D61
.long 0xE0501000, 0x8005413E
.long 0x924A02FF, 0x00000100
.long 0xD135003F, 0x00009504
.long 0x247E7E82
.long 0xD100003F, 0x013A7F61
.long 0x24800882
.long 0xD1FE003E, 0x020A0903
.long 0xD100003E, 0x013A7D61
.long 0xD1196A04, 0x00010500
.long 0xD0C9004A, 0x00003104
.long 0xD0C9004E, 0x00003301
.long 0x86CE4E4A
.long 0xD1FE0043, 0x020A0902
.long 0xD1000043, 0x013A8761
.long 0xE0501000, 0x80054643
.long 0x924A02FF, 0x00000100
.long 0xD1350044, 0x00009504
.long 0x24888882
.long 0xD1000044, 0x013A8961
.long 0x248A0882
.long 0xD1FE0043, 0x020A0903
.long 0xD1000043, 0x013A8761
.long 0xD1196A04, 0x00010700
.long 0xD0C9004A, 0x00003104
.long 0xD0C9004E, 0x00003301
.long 0x86CE4E4A
.long 0xD1FE0048, 0x020A0902
.long 0xD1000048, 0x013A9161
.long 0xE0501000, 0x80054B48
.long 0x924A02FF, 0x00000100
.long 0xD1350049, 0x00009504
.long 0x24929282
.long 0xD1000049, 0x013A9361
.long 0x24940882
.long 0xD1FE0048, 0x020A0903
.long 0xD1000048, 0x013A9161
	;; [unrolled: 58-line block ×3, first 2 shown]
.long 0xD3D8400F, 0x18000130
.long 0xD3D84016, 0x18000134
	;; [unrolled: 1-line block ×16, first 2 shown]
.long 0xBF800001
.long 0x0A1E1E2C
	;; [unrolled: 1-line block ×18, first 2 shown]
.long 0xD0CC0034, 0x00010042
.long 0xD100000E, 0x00D21CF2
.long 0x0A1E1F0E
.long 0xD13B000F, 0x00005B0C
.long 0x02081F0D
.long 0xBEC81E3E
.long 0x7E1E0304
.long 0xE0701000, 0x80040F09
.long 0xD0CC0034, 0x00010042
.long 0xD1000015, 0x00D22AF2
.long 0x0A2C2D15
.long 0xD13B0016, 0x00005B13
.long 0x02082D14
.long 0xBEC81E3E
.long 0x7E2C0304
.long 0xE0701000, 0x80041610
	;; [unrolled: 8-line block ×16, first 2 shown]
.long 0xBF800000
.long 0x7EC202FF, 0x80000000
.long 0xD1196A01, 0x00011B01
.long 0x924A8D26
.long 0xD1340002, 0x00009502
.long 0x924A8D24
.long 0xD1340003, 0x00009503
.long 0xD0C9004A, 0x00003100
.long 0xD0C9004E, 0x00003301
.long 0x86CE4E4A
.long 0xD1FE0009, 0x020A0102
.long 0xD1000009, 0x013A1361
.long 0xE0501000, 0x80050C09
.long 0x924A02FF, 0x00000100
.long 0xD135000A, 0x00009500
.long 0x24141482
.long 0xD100000A, 0x013A1561
.long 0xD86C0000, 0x0D00000A
.long 0x24160082
.long 0xE0501000, 0x80100E0B
.long 0xD1FE0009, 0x020A0103
.long 0xD1000009, 0x013A1361
.long 0xD1196A04, 0x00010300
.long 0xD0C9004A, 0x00003104
.long 0xD0C9004E, 0x00003301
.long 0x86CE4E4A
.long 0xD1FE0010, 0x020A0902
.long 0xD1000010, 0x013A2161
.long 0xE0501000, 0x80051310
.long 0x924A02FF, 0x00000100
.long 0xD1350011, 0x00009504
.long 0x24222282
.long 0xD1000011, 0x013A2361
.long 0xD86C0000, 0x14000011
.long 0x24240882
.long 0xE0501000, 0x80101512
.long 0xD1FE0010, 0x020A0903
.long 0xD1000010, 0x013A2161
	;; [unrolled: 16-line block ×4, first 2 shown]
.long 0xD1196A01, 0x00010301
.long 0xD1340002, 0x00004D02
.long 0xD1340003, 0x00004903
.long 0xD0C9004A, 0x00003100
.long 0xD0C9004E, 0x00003301
.long 0x86CE4E4A
.long 0xD1FE0025, 0x020A0102
.long 0xD1000025, 0x013A4B61
.long 0xE0501000, 0x80052825
.long 0x924A02FF, 0x00000100
.long 0xD1350026, 0x00009500
.long 0x244C4C82
.long 0xD1000026, 0x013A4D61
.long 0x244E0082
.long 0xD1FE0025, 0x020A0103
.long 0xD1000025, 0x013A4B61
.long 0xD1196A04, 0x00010300
.long 0xD0C9004A, 0x00003104
.long 0xD0C9004E, 0x00003301
.long 0x86CE4E4A
.long 0xD1FE002A, 0x020A0902
.long 0xD100002A, 0x013A5561
.long 0xE0501000, 0x80052D2A
.long 0x924A02FF, 0x00000100
.long 0xD135002B, 0x00009504
.long 0x24565682
.long 0xD100002B, 0x013A5761
.long 0x24580882
.long 0xD1FE002A, 0x020A0903
.long 0xD100002A, 0x013A5561
.long 0xD1196A04, 0x00010500
.long 0xD0C9004A, 0x00003104
.long 0xD0C9004E, 0x00003301
.long 0x86CE4E4A
.long 0xD1FE002F, 0x020A0902
.long 0xD100002F, 0x013A5F61
.long 0xE0501000, 0x8005322F
.long 0x924A02FF, 0x00000100
.long 0xD1350030, 0x00009504
.long 0x24606082
.long 0xD1000030, 0x013A6161
.long 0x24620882
.long 0xD1FE002F, 0x020A0903
.long 0xD100002F, 0x013A5F61
.long 0xD1196A04, 0x00010700
.long 0xD0C9004A, 0x00003104
.long 0xD0C9004E, 0x00003301
.long 0x86CE4E4A
.long 0xD1FE0034, 0x020A0902
.long 0xD1000034, 0x013A6961
.long 0xE0501000, 0x80053734
.long 0x924A02FF, 0x00000100
.long 0xD1350035, 0x00009504
.long 0x246A6A82
.long 0xD1000035, 0x013A6B61
.long 0x246C0882
.long 0xD1FE0034, 0x020A0903
.long 0xD1000034, 0x013A6961
.long 0xD1196A01, 0x00010301
.long 0xD1340002, 0x00004D02
.long 0xD1340003, 0x00004903
.long 0xD0C9004A, 0x00003100
.long 0xD0C9004E, 0x00003301
.long 0x86CE4E4A
.long 0xD1FE0039, 0x020A0102
.long 0xD1000039, 0x013A7361
.long 0xE0501000, 0x80053C39
.long 0x924A02FF, 0x00000100
.long 0xD135003A, 0x00009500
.long 0x24747482
.long 0xD100003A, 0x013A7561
.long 0x24760082
.long 0xD1FE0039, 0x020A0103
.long 0xD1000039, 0x013A7361
.long 0xD1196A04, 0x00010300
.long 0xD0C9004A, 0x00003104
.long 0xD0C9004E, 0x00003301
.long 0x86CE4E4A
.long 0xD1FE003E, 0x020A0902
.long 0xD100003E, 0x013A7D61
.long 0xE0501000, 0x8005413E
.long 0x924A02FF, 0x00000100
.long 0xD135003F, 0x00009504
.long 0x247E7E82
.long 0xD100003F, 0x013A7F61
.long 0x24800882
.long 0xD1FE003E, 0x020A0903
.long 0xD100003E, 0x013A7D61
.long 0xD1196A04, 0x00010500
.long 0xD0C9004A, 0x00003104
.long 0xD0C9004E, 0x00003301
.long 0x86CE4E4A
.long 0xD1FE0043, 0x020A0902
.long 0xD1000043, 0x013A8761
.long 0xE0501000, 0x80054643
.long 0x924A02FF, 0x00000100
.long 0xD1350044, 0x00009504
.long 0x24888882
.long 0xD1000044, 0x013A8961
.long 0x248A0882
.long 0xD1FE0043, 0x020A0903
.long 0xD1000043, 0x013A8761
.long 0xD1196A04, 0x00010700
.long 0xD0C9004A, 0x00003104
.long 0xD0C9004E, 0x00003301
.long 0x86CE4E4A
.long 0xD1FE0048, 0x020A0902
.long 0xD1000048, 0x013A9161
.long 0xE0501000, 0x80054B48
.long 0x924A02FF, 0x00000100
.long 0xD1350049, 0x00009504
.long 0x24929282
.long 0xD1000049, 0x013A9361
.long 0x24940882
.long 0xD1FE0048, 0x020A0903
.long 0xD1000048, 0x013A9161
	;; [unrolled: 58-line block ×3, first 2 shown]
.long 0xD3D8400F, 0x18000140
.long 0xD3D84016, 0x18000144
	;; [unrolled: 1-line block ×16, first 2 shown]
.long 0xBF800001
.long 0x0A1E1E2C
.long 0x0A2C2C2C
.long 0x0A3A3A2C
.long 0x0A48482C
.long 0x0A52522C
.long 0x0A5C5C2C
.long 0x0A66662C
.long 0x0A70702C
.long 0x0A7A7A2C
.long 0x0A84842C
.long 0x0A8E8E2C
.long 0x0A98982C
.long 0x0AA2A22C
.long 0x0AACAC2C
.long 0x0AB6B62C
.long 0x0AC0C02C
.long 0xBF8C0000
.long 0xD0CC0034, 0x00010042
.long 0xD100000E, 0x00D21CF2
.long 0x0A1E1F0E
.long 0xD13B000F, 0x00005B0C
.long 0x02081F0D
.long 0xBEC81E3E
.long 0x7E1E0304
.long 0xE0701000, 0x80040F09
.long 0xD0CC0034, 0x00010042
.long 0xD1000015, 0x00D22AF2
.long 0x0A2C2D15
.long 0xD13B0016, 0x00005B13
.long 0x02082D14
.long 0xBEC81E3E
.long 0x7E2C0304
.long 0xE0701000, 0x80041610
	;; [unrolled: 8-line block ×16, first 2 shown]
.long 0xBF800000
.long 0x7EC202FF, 0x80000000
.long 0xD1196A01, 0x00011B01
.long 0x924A8D26
.long 0xD1340002, 0x00009502
.long 0x924A8D24
.long 0xD1340003, 0x00009503
.long 0xD0C9004A, 0x00003100
.long 0xD0C9004E, 0x00003301
.long 0x86CE4E4A
.long 0xD1FE0009, 0x020A0102
.long 0xD1000009, 0x013A1361
.long 0xE0501000, 0x80050C09
.long 0x924A02FF, 0x00000100
.long 0xD135000A, 0x00009500
.long 0x24141482
.long 0xD100000A, 0x013A1561
.long 0xD86C0000, 0x0D00000A
.long 0x24160082
.long 0xE0501000, 0x80100E0B
.long 0xD1FE0009, 0x020A0103
.long 0xD1000009, 0x013A1361
.long 0xD1196A04, 0x00010300
.long 0xD0C9004A, 0x00003104
.long 0xD0C9004E, 0x00003301
.long 0x86CE4E4A
.long 0xD1FE0010, 0x020A0902
.long 0xD1000010, 0x013A2161
.long 0xE0501000, 0x80051310
.long 0x924A02FF, 0x00000100
.long 0xD1350011, 0x00009504
.long 0x24222282
.long 0xD1000011, 0x013A2361
.long 0xD86C0000, 0x14000011
.long 0x24240882
.long 0xE0501000, 0x80101512
.long 0xD1FE0010, 0x020A0903
.long 0xD1000010, 0x013A2161
	;; [unrolled: 16-line block ×4, first 2 shown]
.long 0xD1196A01, 0x00010301
.long 0xD1340002, 0x00004D02
.long 0xD1340003, 0x00004903
.long 0xD0C9004A, 0x00003100
.long 0xD0C9004E, 0x00003301
.long 0x86CE4E4A
.long 0xD1FE0025, 0x020A0102
.long 0xD1000025, 0x013A4B61
.long 0xE0501000, 0x80052825
.long 0x924A02FF, 0x00000100
.long 0xD1350026, 0x00009500
.long 0x244C4C82
.long 0xD1000026, 0x013A4D61
.long 0x244E0082
.long 0xD1FE0025, 0x020A0103
.long 0xD1000025, 0x013A4B61
.long 0xD1196A04, 0x00010300
.long 0xD0C9004A, 0x00003104
.long 0xD0C9004E, 0x00003301
.long 0x86CE4E4A
.long 0xD1FE002A, 0x020A0902
.long 0xD100002A, 0x013A5561
.long 0xE0501000, 0x80052D2A
.long 0x924A02FF, 0x00000100
.long 0xD135002B, 0x00009504
.long 0x24565682
.long 0xD100002B, 0x013A5761
.long 0x24580882
.long 0xD1FE002A, 0x020A0903
.long 0xD100002A, 0x013A5561
.long 0xD1196A04, 0x00010500
.long 0xD0C9004A, 0x00003104
.long 0xD0C9004E, 0x00003301
.long 0x86CE4E4A
.long 0xD1FE002F, 0x020A0902
.long 0xD100002F, 0x013A5F61
.long 0xE0501000, 0x8005322F
.long 0x924A02FF, 0x00000100
.long 0xD1350030, 0x00009504
.long 0x24606082
.long 0xD1000030, 0x013A6161
.long 0x24620882
.long 0xD1FE002F, 0x020A0903
.long 0xD100002F, 0x013A5F61
.long 0xD1196A04, 0x00010700
.long 0xD0C9004A, 0x00003104
.long 0xD0C9004E, 0x00003301
.long 0x86CE4E4A
.long 0xD1FE0034, 0x020A0902
.long 0xD1000034, 0x013A6961
.long 0xE0501000, 0x80053734
.long 0x924A02FF, 0x00000100
.long 0xD1350035, 0x00009504
.long 0x246A6A82
.long 0xD1000035, 0x013A6B61
.long 0x246C0882
.long 0xD1FE0034, 0x020A0903
.long 0xD1000034, 0x013A6961
.long 0xD1196A01, 0x00010301
.long 0xD1340002, 0x00004D02
.long 0xD1340003, 0x00004903
.long 0xD0C9004A, 0x00003100
.long 0xD0C9004E, 0x00003301
.long 0x86CE4E4A
.long 0xD1FE0039, 0x020A0102
.long 0xD1000039, 0x013A7361
.long 0xE0501000, 0x80053C39
.long 0x924A02FF, 0x00000100
.long 0xD135003A, 0x00009500
.long 0x24747482
.long 0xD100003A, 0x013A7561
.long 0x24760082
.long 0xD1FE0039, 0x020A0103
.long 0xD1000039, 0x013A7361
.long 0xD1196A04, 0x00010300
.long 0xD0C9004A, 0x00003104
.long 0xD0C9004E, 0x00003301
.long 0x86CE4E4A
.long 0xD1FE003E, 0x020A0902
.long 0xD100003E, 0x013A7D61
.long 0xE0501000, 0x8005413E
.long 0x924A02FF, 0x00000100
.long 0xD135003F, 0x00009504
.long 0x247E7E82
.long 0xD100003F, 0x013A7F61
.long 0x24800882
.long 0xD1FE003E, 0x020A0903
.long 0xD100003E, 0x013A7D61
.long 0xD1196A04, 0x00010500
.long 0xD0C9004A, 0x00003104
.long 0xD0C9004E, 0x00003301
.long 0x86CE4E4A
.long 0xD1FE0043, 0x020A0902
.long 0xD1000043, 0x013A8761
.long 0xE0501000, 0x80054643
.long 0x924A02FF, 0x00000100
.long 0xD1350044, 0x00009504
.long 0x24888882
.long 0xD1000044, 0x013A8961
.long 0x248A0882
.long 0xD1FE0043, 0x020A0903
.long 0xD1000043, 0x013A8761
.long 0xD1196A04, 0x00010700
.long 0xD0C9004A, 0x00003104
.long 0xD0C9004E, 0x00003301
.long 0x86CE4E4A
.long 0xD1FE0048, 0x020A0902
.long 0xD1000048, 0x013A9161
.long 0xE0501000, 0x80054B48
.long 0x924A02FF, 0x00000100
.long 0xD1350049, 0x00009504
.long 0x24929282
.long 0xD1000049, 0x013A9361
.long 0x24940882
.long 0xD1FE0048, 0x020A0903
.long 0xD1000048, 0x013A9161
	;; [unrolled: 58-line block ×3, first 2 shown]
.long 0xD3D8400F, 0x18000150
.long 0xD3D84016, 0x18000154
	;; [unrolled: 1-line block ×16, first 2 shown]
.long 0xBF800001
.long 0x0A1E1E2C
	;; [unrolled: 1-line block ×18, first 2 shown]
.long 0xD0CC0034, 0x00010042
.long 0xD100000E, 0x00D21CF2
.long 0x0A1E1F0E
.long 0xD13B000F, 0x00005B0C
.long 0x02081F0D
.long 0xBEC81E3E
.long 0x7E1E0304
.long 0xE0701000, 0x80040F09
.long 0xD0CC0034, 0x00010042
.long 0xD1000015, 0x00D22AF2
.long 0x0A2C2D15
.long 0xD13B0016, 0x00005B13
.long 0x02082D14
.long 0xBEC81E3E
.long 0x7E2C0304
.long 0xE0701000, 0x80041610
	;; [unrolled: 8-line block ×16, first 2 shown]
.long 0xBF800000
.long 0x7EC202FF, 0x80000000
.long 0xD1196A01, 0x00011B01
.long 0x924A8D26
.long 0xD1340002, 0x00009502
.long 0x924A8D24
.long 0xD1340003, 0x00009503
.long 0xD0C9004A, 0x00003100
.long 0xD0C9004E, 0x00003301
.long 0x86CE4E4A
.long 0xD1FE0009, 0x020A0102
.long 0xD1000009, 0x013A1361
.long 0xE0501000, 0x80050C09
.long 0x924A02FF, 0x00000100
.long 0xD135000A, 0x00009500
.long 0x24141482
.long 0xD100000A, 0x013A1561
.long 0xD86C0000, 0x0D00000A
.long 0x24160082
.long 0xE0501000, 0x80100E0B
.long 0xD1FE0009, 0x020A0103
.long 0xD1000009, 0x013A1361
.long 0xD1196A04, 0x00010300
.long 0xD0C9004A, 0x00003104
.long 0xD0C9004E, 0x00003301
.long 0x86CE4E4A
.long 0xD1FE0010, 0x020A0902
.long 0xD1000010, 0x013A2161
.long 0xE0501000, 0x80051310
.long 0x924A02FF, 0x00000100
.long 0xD1350011, 0x00009504
.long 0x24222282
.long 0xD1000011, 0x013A2361
.long 0xD86C0000, 0x14000011
.long 0x24240882
.long 0xE0501000, 0x80101512
.long 0xD1FE0010, 0x020A0903
.long 0xD1000010, 0x013A2161
.long 0xD1196A04, 0x00010500
.long 0xD0C9004A, 0x00003104
.long 0xD0C9004E, 0x00003301
.long 0x86CE4E4A
.long 0xD1FE0017, 0x020A0902
.long 0xD1000017, 0x013A2F61
.long 0xE0501000, 0x80051A17
.long 0x924A02FF, 0x00000100
.long 0xD1350018, 0x00009504
.long 0x24303082
.long 0xD1000018, 0x013A3161
.long 0xD86C0000, 0x1B000018
.long 0x24320882
.long 0xE0501000, 0x80101C19
.long 0xD1FE0017, 0x020A0903
.long 0xD1000017, 0x013A2F61
.long 0xD1196A04, 0x00010700
.long 0xD0C9004A, 0x00003104
.long 0xD0C9004E, 0x00003301
.long 0x86CE4E4A
.long 0xD1FE001E, 0x020A0902
.long 0xD100001E, 0x013A3D61
.long 0xE0501000, 0x8005211E
.long 0x924A02FF, 0x00000100
.long 0xD135001F, 0x00009504
.long 0x243E3E82
.long 0xD100001F, 0x013A3F61
.long 0xD86C0000, 0x2200001F
.long 0x24400882
.long 0xE0501000, 0x80102320
.long 0xD1FE001E, 0x020A0903
.long 0xD100001E, 0x013A3D61
.long 0xD1196A01, 0x00010301
.long 0xD1340002, 0x00004D02
.long 0xD1340003, 0x00004903
.long 0xD0C9004A, 0x00003100
.long 0xD0C9004E, 0x00003301
.long 0x86CE4E4A
.long 0xD1FE0025, 0x020A0102
.long 0xD1000025, 0x013A4B61
.long 0xE0501000, 0x80052825
.long 0x924A02FF, 0x00000100
.long 0xD1350026, 0x00009500
.long 0x244C4C82
.long 0xD1000026, 0x013A4D61
.long 0x244E0082
.long 0xD1FE0025, 0x020A0103
.long 0xD1000025, 0x013A4B61
.long 0xD1196A04, 0x00010300
.long 0xD0C9004A, 0x00003104
.long 0xD0C9004E, 0x00003301
.long 0x86CE4E4A
.long 0xD1FE002A, 0x020A0902
.long 0xD100002A, 0x013A5561
.long 0xE0501000, 0x80052D2A
.long 0x924A02FF, 0x00000100
.long 0xD135002B, 0x00009504
.long 0x24565682
.long 0xD100002B, 0x013A5761
.long 0x24580882
.long 0xD1FE002A, 0x020A0903
.long 0xD100002A, 0x013A5561
.long 0xD1196A04, 0x00010500
.long 0xD0C9004A, 0x00003104
.long 0xD0C9004E, 0x00003301
.long 0x86CE4E4A
.long 0xD1FE002F, 0x020A0902
.long 0xD100002F, 0x013A5F61
.long 0xE0501000, 0x8005322F
.long 0x924A02FF, 0x00000100
.long 0xD1350030, 0x00009504
.long 0x24606082
.long 0xD1000030, 0x013A6161
.long 0x24620882
.long 0xD1FE002F, 0x020A0903
.long 0xD100002F, 0x013A5F61
.long 0xD1196A04, 0x00010700
.long 0xD0C9004A, 0x00003104
.long 0xD0C9004E, 0x00003301
.long 0x86CE4E4A
.long 0xD1FE0034, 0x020A0902
.long 0xD1000034, 0x013A6961
.long 0xE0501000, 0x80053734
.long 0x924A02FF, 0x00000100
.long 0xD1350035, 0x00009504
.long 0x246A6A82
.long 0xD1000035, 0x013A6B61
.long 0x246C0882
.long 0xD1FE0034, 0x020A0903
.long 0xD1000034, 0x013A6961
.long 0xD1196A01, 0x00010301
.long 0xD1340002, 0x00004D02
.long 0xD1340003, 0x00004903
.long 0xD0C9004A, 0x00003100
.long 0xD0C9004E, 0x00003301
.long 0x86CE4E4A
.long 0xD1FE0039, 0x020A0102
.long 0xD1000039, 0x013A7361
.long 0xE0501000, 0x80053C39
.long 0x924A02FF, 0x00000100
.long 0xD135003A, 0x00009500
.long 0x24747482
.long 0xD100003A, 0x013A7561
.long 0x24760082
.long 0xD1FE0039, 0x020A0103
.long 0xD1000039, 0x013A7361
.long 0xD1196A04, 0x00010300
.long 0xD0C9004A, 0x00003104
.long 0xD0C9004E, 0x00003301
.long 0x86CE4E4A
.long 0xD1FE003E, 0x020A0902
.long 0xD100003E, 0x013A7D61
.long 0xE0501000, 0x8005413E
.long 0x924A02FF, 0x00000100
.long 0xD135003F, 0x00009504
.long 0x247E7E82
.long 0xD100003F, 0x013A7F61
.long 0x24800882
.long 0xD1FE003E, 0x020A0903
.long 0xD100003E, 0x013A7D61
.long 0xD1196A04, 0x00010500
.long 0xD0C9004A, 0x00003104
.long 0xD0C9004E, 0x00003301
.long 0x86CE4E4A
.long 0xD1FE0043, 0x020A0902
.long 0xD1000043, 0x013A8761
.long 0xE0501000, 0x80054643
.long 0x924A02FF, 0x00000100
.long 0xD1350044, 0x00009504
.long 0x24888882
.long 0xD1000044, 0x013A8961
.long 0x248A0882
.long 0xD1FE0043, 0x020A0903
.long 0xD1000043, 0x013A8761
.long 0xD1196A04, 0x00010700
.long 0xD0C9004A, 0x00003104
.long 0xD0C9004E, 0x00003301
.long 0x86CE4E4A
.long 0xD1FE0048, 0x020A0902
.long 0xD1000048, 0x013A9161
.long 0xE0501000, 0x80054B48
.long 0x924A02FF, 0x00000100
.long 0xD1350049, 0x00009504
.long 0x24929282
.long 0xD1000049, 0x013A9361
.long 0x24940882
.long 0xD1FE0048, 0x020A0903
.long 0xD1000048, 0x013A9161
	;; [unrolled: 58-line block ×3, first 2 shown]
.long 0xD3D8400F, 0x18000160
.long 0xD3D84016, 0x18000164
	;; [unrolled: 1-line block ×16, first 2 shown]
.long 0xBF800001
.long 0x0A1E1E2C
	;; [unrolled: 1-line block ×18, first 2 shown]
.long 0xD0CC0034, 0x00010042
.long 0xD100000E, 0x00D21CF2
.long 0x0A1E1F0E
.long 0xD13B000F, 0x00005B0C
.long 0x02081F0D
.long 0xBEC81E3E
.long 0x7E1E0304
.long 0xE0701000, 0x80040F09
.long 0xD0CC0034, 0x00010042
.long 0xD1000015, 0x00D22AF2
.long 0x0A2C2D15
.long 0xD13B0016, 0x00005B13
.long 0x02082D14
.long 0xBEC81E3E
.long 0x7E2C0304
.long 0xE0701000, 0x80041610
	;; [unrolled: 8-line block ×16, first 2 shown]
.long 0xBF800000
.long 0x7EC202FF, 0x80000000
.long 0xD1196A01, 0x00011B01
.long 0x924A8D26
.long 0xD1340002, 0x00009502
.long 0x924A8D24
.long 0xD1340003, 0x00009503
.long 0xD0C9004A, 0x00003100
.long 0xD0C9004E, 0x00003301
.long 0x86CE4E4A
.long 0xD1FE0009, 0x020A0102
.long 0xD1000009, 0x013A1361
.long 0xE0501000, 0x80050C09
.long 0x924A02FF, 0x00000100
.long 0xD135000A, 0x00009500
.long 0x24141482
.long 0xD100000A, 0x013A1561
.long 0xD86C0000, 0x0D00000A
.long 0x24160082
.long 0xE0501000, 0x80100E0B
.long 0xD1FE0009, 0x020A0103
.long 0xD1000009, 0x013A1361
.long 0xD1196A04, 0x00010300
.long 0xD0C9004A, 0x00003104
.long 0xD0C9004E, 0x00003301
.long 0x86CE4E4A
.long 0xD1FE0010, 0x020A0902
.long 0xD1000010, 0x013A2161
.long 0xE0501000, 0x80051310
.long 0x924A02FF, 0x00000100
.long 0xD1350011, 0x00009504
.long 0x24222282
.long 0xD1000011, 0x013A2361
.long 0xD86C0000, 0x14000011
.long 0x24240882
.long 0xE0501000, 0x80101512
.long 0xD1FE0010, 0x020A0903
.long 0xD1000010, 0x013A2161
.long 0xD1196A04, 0x00010500
.long 0xD0C9004A, 0x00003104
.long 0xD0C9004E, 0x00003301
.long 0x86CE4E4A
.long 0xD1FE0017, 0x020A0902
.long 0xD1000017, 0x013A2F61
.long 0xE0501000, 0x80051A17
.long 0x924A02FF, 0x00000100
.long 0xD1350018, 0x00009504
.long 0x24303082
.long 0xD1000018, 0x013A3161
.long 0xD86C0000, 0x1B000018
.long 0x24320882
.long 0xE0501000, 0x80101C19
.long 0xD1FE0017, 0x020A0903
.long 0xD1000017, 0x013A2F61
.long 0xD1196A04, 0x00010700
.long 0xD0C9004A, 0x00003104
.long 0xD0C9004E, 0x00003301
.long 0x86CE4E4A
.long 0xD1FE001E, 0x020A0902
.long 0xD100001E, 0x013A3D61
.long 0xE0501000, 0x8005211E
.long 0x924A02FF, 0x00000100
.long 0xD135001F, 0x00009504
.long 0x243E3E82
.long 0xD100001F, 0x013A3F61
.long 0xD86C0000, 0x2200001F
.long 0x24400882
.long 0xE0501000, 0x80102320
.long 0xD1FE001E, 0x020A0903
.long 0xD100001E, 0x013A3D61
.long 0xD1196A01, 0x00010301
.long 0xD1340002, 0x00004D02
.long 0xD1340003, 0x00004903
.long 0xD0C9004A, 0x00003100
.long 0xD0C9004E, 0x00003301
.long 0x86CE4E4A
.long 0xD1FE0025, 0x020A0102
.long 0xD1000025, 0x013A4B61
.long 0xE0501000, 0x80052825
.long 0x924A02FF, 0x00000100
.long 0xD1350026, 0x00009500
.long 0x244C4C82
.long 0xD1000026, 0x013A4D61
.long 0x244E0082
.long 0xD1FE0025, 0x020A0103
.long 0xD1000025, 0x013A4B61
.long 0xD1196A04, 0x00010300
.long 0xD0C9004A, 0x00003104
.long 0xD0C9004E, 0x00003301
.long 0x86CE4E4A
.long 0xD1FE002A, 0x020A0902
.long 0xD100002A, 0x013A5561
.long 0xE0501000, 0x80052D2A
.long 0x924A02FF, 0x00000100
.long 0xD135002B, 0x00009504
.long 0x24565682
.long 0xD100002B, 0x013A5761
.long 0x24580882
.long 0xD1FE002A, 0x020A0903
.long 0xD100002A, 0x013A5561
.long 0xD1196A04, 0x00010500
.long 0xD0C9004A, 0x00003104
.long 0xD0C9004E, 0x00003301
.long 0x86CE4E4A
.long 0xD1FE002F, 0x020A0902
.long 0xD100002F, 0x013A5F61
.long 0xE0501000, 0x8005322F
.long 0x924A02FF, 0x00000100
.long 0xD1350030, 0x00009504
.long 0x24606082
.long 0xD1000030, 0x013A6161
.long 0x24620882
.long 0xD1FE002F, 0x020A0903
.long 0xD100002F, 0x013A5F61
.long 0xD1196A04, 0x00010700
.long 0xD0C9004A, 0x00003104
.long 0xD0C9004E, 0x00003301
.long 0x86CE4E4A
.long 0xD1FE0034, 0x020A0902
.long 0xD1000034, 0x013A6961
.long 0xE0501000, 0x80053734
.long 0x924A02FF, 0x00000100
.long 0xD1350035, 0x00009504
.long 0x246A6A82
.long 0xD1000035, 0x013A6B61
.long 0x246C0882
.long 0xD1FE0034, 0x020A0903
.long 0xD1000034, 0x013A6961
.long 0xD1196A01, 0x00010301
.long 0xD1340002, 0x00004D02
.long 0xD1340003, 0x00004903
.long 0xD0C9004A, 0x00003100
.long 0xD0C9004E, 0x00003301
.long 0x86CE4E4A
.long 0xD1FE0039, 0x020A0102
.long 0xD1000039, 0x013A7361
.long 0xE0501000, 0x80053C39
.long 0x924A02FF, 0x00000100
.long 0xD135003A, 0x00009500
.long 0x24747482
.long 0xD100003A, 0x013A7561
.long 0x24760082
.long 0xD1FE0039, 0x020A0103
.long 0xD1000039, 0x013A7361
.long 0xD1196A04, 0x00010300
.long 0xD0C9004A, 0x00003104
.long 0xD0C9004E, 0x00003301
.long 0x86CE4E4A
.long 0xD1FE003E, 0x020A0902
.long 0xD100003E, 0x013A7D61
.long 0xE0501000, 0x8005413E
.long 0x924A02FF, 0x00000100
.long 0xD135003F, 0x00009504
.long 0x247E7E82
.long 0xD100003F, 0x013A7F61
.long 0x24800882
.long 0xD1FE003E, 0x020A0903
.long 0xD100003E, 0x013A7D61
.long 0xD1196A04, 0x00010500
.long 0xD0C9004A, 0x00003104
.long 0xD0C9004E, 0x00003301
.long 0x86CE4E4A
.long 0xD1FE0043, 0x020A0902
.long 0xD1000043, 0x013A8761
.long 0xE0501000, 0x80054643
.long 0x924A02FF, 0x00000100
.long 0xD1350044, 0x00009504
.long 0x24888882
.long 0xD1000044, 0x013A8961
.long 0x248A0882
.long 0xD1FE0043, 0x020A0903
.long 0xD1000043, 0x013A8761
.long 0xD1196A04, 0x00010700
.long 0xD0C9004A, 0x00003104
.long 0xD0C9004E, 0x00003301
.long 0x86CE4E4A
.long 0xD1FE0048, 0x020A0902
.long 0xD1000048, 0x013A9161
.long 0xE0501000, 0x80054B48
.long 0x924A02FF, 0x00000100
.long 0xD1350049, 0x00009504
.long 0x24929282
.long 0xD1000049, 0x013A9361
.long 0x24940882
.long 0xD1FE0048, 0x020A0903
.long 0xD1000048, 0x013A9161
	;; [unrolled: 58-line block ×3, first 2 shown]
.long 0xD3D8400F, 0x18000170
.long 0xD3D84016, 0x18000174
	;; [unrolled: 1-line block ×16, first 2 shown]
.long 0xBF800001
.long 0x0A1E1E2C
	;; [unrolled: 1-line block ×18, first 2 shown]
.long 0xD0CC0034, 0x00010042
.long 0xD100000E, 0x00D21CF2
.long 0x0A1E1F0E
.long 0xD13B000F, 0x00005B0C
.long 0x02081F0D
.long 0xBEC81E3E
.long 0x7E1E0304
.long 0xE0701000, 0x80040F09
.long 0xD0CC0034, 0x00010042
.long 0xD1000015, 0x00D22AF2
.long 0x0A2C2D15
.long 0xD13B0016, 0x00005B13
.long 0x02082D14
.long 0xBEC81E3E
.long 0x7E2C0304
.long 0xE0701000, 0x80041610
	;; [unrolled: 8-line block ×16, first 2 shown]
.long 0xBF800000
.long 0x7EC202FF, 0x80000000
.long 0xD1196A01, 0x00011B01
.long 0x924A8D26
.long 0xD1340002, 0x00009502
.long 0x924A8D24
.long 0xD1340003, 0x00009503
.long 0xD0C9004A, 0x00003100
.long 0xD0C9004E, 0x00003301
.long 0x86CE4E4A
.long 0xD1FE0009, 0x020A0102
.long 0xD1000009, 0x013A1361
.long 0xE0501000, 0x80050C09
.long 0x924A02FF, 0x00000100
.long 0xD135000A, 0x00009500
.long 0x24141482
.long 0xD100000A, 0x013A1561
.long 0xD86C0000, 0x0D00000A
.long 0x24160082
.long 0xE0501000, 0x80100E0B
.long 0xD1FE0009, 0x020A0103
.long 0xD1000009, 0x013A1361
.long 0xD1196A04, 0x00010300
.long 0xD0C9004A, 0x00003104
.long 0xD0C9004E, 0x00003301
.long 0x86CE4E4A
.long 0xD1FE0010, 0x020A0902
.long 0xD1000010, 0x013A2161
.long 0xE0501000, 0x80051310
.long 0x924A02FF, 0x00000100
.long 0xD1350011, 0x00009504
.long 0x24222282
.long 0xD1000011, 0x013A2361
.long 0xD86C0000, 0x14000011
.long 0x24240882
.long 0xE0501000, 0x80101512
.long 0xD1FE0010, 0x020A0903
.long 0xD1000010, 0x013A2161
	;; [unrolled: 16-line block ×4, first 2 shown]
.long 0xD1196A01, 0x00010301
.long 0xD1340002, 0x00004D02
.long 0xD1340003, 0x00004903
.long 0xD0C9004A, 0x00003100
.long 0xD0C9004E, 0x00003301
.long 0x86CE4E4A
.long 0xD1FE0025, 0x020A0102
.long 0xD1000025, 0x013A4B61
.long 0xE0501000, 0x80052825
.long 0x924A02FF, 0x00000100
.long 0xD1350026, 0x00009500
.long 0x244C4C82
.long 0xD1000026, 0x013A4D61
.long 0x244E0082
.long 0xD1FE0025, 0x020A0103
.long 0xD1000025, 0x013A4B61
.long 0xD1196A04, 0x00010300
.long 0xD0C9004A, 0x00003104
.long 0xD0C9004E, 0x00003301
.long 0x86CE4E4A
.long 0xD1FE002A, 0x020A0902
.long 0xD100002A, 0x013A5561
.long 0xE0501000, 0x80052D2A
.long 0x924A02FF, 0x00000100
.long 0xD135002B, 0x00009504
.long 0x24565682
.long 0xD100002B, 0x013A5761
.long 0x24580882
.long 0xD1FE002A, 0x020A0903
.long 0xD100002A, 0x013A5561
.long 0xD1196A04, 0x00010500
.long 0xD0C9004A, 0x00003104
.long 0xD0C9004E, 0x00003301
.long 0x86CE4E4A
.long 0xD1FE002F, 0x020A0902
.long 0xD100002F, 0x013A5F61
.long 0xE0501000, 0x8005322F
.long 0x924A02FF, 0x00000100
.long 0xD1350030, 0x00009504
.long 0x24606082
.long 0xD1000030, 0x013A6161
.long 0x24620882
.long 0xD1FE002F, 0x020A0903
.long 0xD100002F, 0x013A5F61
.long 0xD1196A04, 0x00010700
.long 0xD0C9004A, 0x00003104
.long 0xD0C9004E, 0x00003301
.long 0x86CE4E4A
.long 0xD1FE0034, 0x020A0902
.long 0xD1000034, 0x013A6961
.long 0xE0501000, 0x80053734
.long 0x924A02FF, 0x00000100
.long 0xD1350035, 0x00009504
.long 0x246A6A82
.long 0xD1000035, 0x013A6B61
.long 0x246C0882
.long 0xD1FE0034, 0x020A0903
.long 0xD1000034, 0x013A6961
.long 0xD1196A01, 0x00010301
.long 0xD1340002, 0x00004D02
.long 0xD1340003, 0x00004903
.long 0xD0C9004A, 0x00003100
.long 0xD0C9004E, 0x00003301
.long 0x86CE4E4A
.long 0xD1FE0039, 0x020A0102
.long 0xD1000039, 0x013A7361
.long 0xE0501000, 0x80053C39
.long 0x924A02FF, 0x00000100
.long 0xD135003A, 0x00009500
.long 0x24747482
.long 0xD100003A, 0x013A7561
.long 0x24760082
.long 0xD1FE0039, 0x020A0103
.long 0xD1000039, 0x013A7361
.long 0xD1196A04, 0x00010300
.long 0xD0C9004A, 0x00003104
.long 0xD0C9004E, 0x00003301
.long 0x86CE4E4A
.long 0xD1FE003E, 0x020A0902
.long 0xD100003E, 0x013A7D61
.long 0xE0501000, 0x8005413E
.long 0x924A02FF, 0x00000100
.long 0xD135003F, 0x00009504
.long 0x247E7E82
.long 0xD100003F, 0x013A7F61
.long 0x24800882
.long 0xD1FE003E, 0x020A0903
.long 0xD100003E, 0x013A7D61
.long 0xD1196A04, 0x00010500
.long 0xD0C9004A, 0x00003104
.long 0xD0C9004E, 0x00003301
.long 0x86CE4E4A
.long 0xD1FE0043, 0x020A0902
.long 0xD1000043, 0x013A8761
.long 0xE0501000, 0x80054643
.long 0x924A02FF, 0x00000100
.long 0xD1350044, 0x00009504
.long 0x24888882
.long 0xD1000044, 0x013A8961
.long 0x248A0882
.long 0xD1FE0043, 0x020A0903
.long 0xD1000043, 0x013A8761
.long 0xD1196A04, 0x00010700
.long 0xD0C9004A, 0x00003104
.long 0xD0C9004E, 0x00003301
.long 0x86CE4E4A
.long 0xD1FE0048, 0x020A0902
.long 0xD1000048, 0x013A9161
.long 0xE0501000, 0x80054B48
.long 0x924A02FF, 0x00000100
.long 0xD1350049, 0x00009504
.long 0x24929282
.long 0xD1000049, 0x013A9361
.long 0x24940882
.long 0xD1FE0048, 0x020A0903
.long 0xD1000048, 0x013A9161
	;; [unrolled: 58-line block ×3, first 2 shown]
.long 0xD3D8400F, 0x18000180
.long 0xD3D84016, 0x18000184
.long 0xD3D8401D, 0x18000188
.long 0xD3D84024, 0x1800018C
.long 0xD3D84029, 0x18000181
.long 0xD3D8402E, 0x18000185
.long 0xD3D84033, 0x18000189
.long 0xD3D84038, 0x1800018D
.long 0xD3D8403D, 0x18000182
.long 0xD3D84042, 0x18000186
.long 0xD3D84047, 0x1800018A
.long 0xD3D8404C, 0x1800018E
.long 0xD3D84051, 0x18000183
.long 0xD3D84056, 0x18000187
.long 0xD3D8405B, 0x1800018B
.long 0xD3D84060, 0x1800018F
.long 0xBF800001
.long 0x0A1E1E2C
	;; [unrolled: 1-line block ×18, first 2 shown]
.long 0xD0CC0034, 0x00010042
.long 0xD100000E, 0x00D21CF2
.long 0x0A1E1F0E
.long 0xD13B000F, 0x00005B0C
.long 0x02081F0D
.long 0xBEC81E3E
.long 0x7E1E0304
.long 0xE0701000, 0x80040F09
.long 0xD0CC0034, 0x00010042
.long 0xD1000015, 0x00D22AF2
.long 0x0A2C2D15
.long 0xD13B0016, 0x00005B13
.long 0x02082D14
.long 0xBEC81E3E
.long 0x7E2C0304
.long 0xE0701000, 0x80041610
	;; [unrolled: 8-line block ×16, first 2 shown]
.long 0xBF800000
.long 0x7EC202FF, 0x80000000
.long 0xD1196A01, 0x00011B01
.long 0x924A8D26
.long 0xD1340002, 0x00009502
.long 0x924A8D24
.long 0xD1340003, 0x00009503
.long 0xD0C9004A, 0x00003100
.long 0xD0C9004E, 0x00003301
.long 0x86CE4E4A
.long 0xD1FE0009, 0x020A0102
.long 0xD1000009, 0x013A1361
.long 0xE0501000, 0x80050C09
.long 0x924A02FF, 0x00000100
.long 0xD135000A, 0x00009500
.long 0x24141482
.long 0xD100000A, 0x013A1561
.long 0xD86C0000, 0x0D00000A
.long 0x24160082
.long 0xE0501000, 0x80100E0B
.long 0xD1FE0009, 0x020A0103
.long 0xD1000009, 0x013A1361
.long 0xD1196A04, 0x00010300
.long 0xD0C9004A, 0x00003104
.long 0xD0C9004E, 0x00003301
.long 0x86CE4E4A
.long 0xD1FE0010, 0x020A0902
.long 0xD1000010, 0x013A2161
.long 0xE0501000, 0x80051310
.long 0x924A02FF, 0x00000100
.long 0xD1350011, 0x00009504
.long 0x24222282
.long 0xD1000011, 0x013A2361
.long 0xD86C0000, 0x14000011
.long 0x24240882
.long 0xE0501000, 0x80101512
.long 0xD1FE0010, 0x020A0903
.long 0xD1000010, 0x013A2161
	;; [unrolled: 16-line block ×4, first 2 shown]
.long 0xD1196A01, 0x00010301
.long 0xD1340002, 0x00004D02
.long 0xD1340003, 0x00004903
.long 0xD0C9004A, 0x00003100
.long 0xD0C9004E, 0x00003301
.long 0x86CE4E4A
.long 0xD1FE0025, 0x020A0102
.long 0xD1000025, 0x013A4B61
.long 0xE0501000, 0x80052825
.long 0x924A02FF, 0x00000100
.long 0xD1350026, 0x00009500
.long 0x244C4C82
.long 0xD1000026, 0x013A4D61
.long 0x244E0082
.long 0xD1FE0025, 0x020A0103
.long 0xD1000025, 0x013A4B61
.long 0xD1196A04, 0x00010300
.long 0xD0C9004A, 0x00003104
.long 0xD0C9004E, 0x00003301
.long 0x86CE4E4A
.long 0xD1FE002A, 0x020A0902
.long 0xD100002A, 0x013A5561
.long 0xE0501000, 0x80052D2A
.long 0x924A02FF, 0x00000100
.long 0xD135002B, 0x00009504
.long 0x24565682
.long 0xD100002B, 0x013A5761
.long 0x24580882
.long 0xD1FE002A, 0x020A0903
.long 0xD100002A, 0x013A5561
.long 0xD1196A04, 0x00010500
.long 0xD0C9004A, 0x00003104
.long 0xD0C9004E, 0x00003301
.long 0x86CE4E4A
.long 0xD1FE002F, 0x020A0902
.long 0xD100002F, 0x013A5F61
.long 0xE0501000, 0x8005322F
.long 0x924A02FF, 0x00000100
.long 0xD1350030, 0x00009504
.long 0x24606082
.long 0xD1000030, 0x013A6161
.long 0x24620882
.long 0xD1FE002F, 0x020A0903
.long 0xD100002F, 0x013A5F61
.long 0xD1196A04, 0x00010700
.long 0xD0C9004A, 0x00003104
.long 0xD0C9004E, 0x00003301
.long 0x86CE4E4A
.long 0xD1FE0034, 0x020A0902
.long 0xD1000034, 0x013A6961
.long 0xE0501000, 0x80053734
.long 0x924A02FF, 0x00000100
.long 0xD1350035, 0x00009504
.long 0x246A6A82
.long 0xD1000035, 0x013A6B61
.long 0x246C0882
.long 0xD1FE0034, 0x020A0903
.long 0xD1000034, 0x013A6961
.long 0xD1196A01, 0x00010301
.long 0xD1340002, 0x00004D02
.long 0xD1340003, 0x00004903
.long 0xD0C9004A, 0x00003100
.long 0xD0C9004E, 0x00003301
.long 0x86CE4E4A
.long 0xD1FE0039, 0x020A0102
.long 0xD1000039, 0x013A7361
.long 0xE0501000, 0x80053C39
.long 0x924A02FF, 0x00000100
.long 0xD135003A, 0x00009500
.long 0x24747482
.long 0xD100003A, 0x013A7561
.long 0x24760082
.long 0xD1FE0039, 0x020A0103
.long 0xD1000039, 0x013A7361
.long 0xD1196A04, 0x00010300
.long 0xD0C9004A, 0x00003104
.long 0xD0C9004E, 0x00003301
.long 0x86CE4E4A
.long 0xD1FE003E, 0x020A0902
.long 0xD100003E, 0x013A7D61
.long 0xE0501000, 0x8005413E
.long 0x924A02FF, 0x00000100
.long 0xD135003F, 0x00009504
.long 0x247E7E82
.long 0xD100003F, 0x013A7F61
.long 0x24800882
.long 0xD1FE003E, 0x020A0903
.long 0xD100003E, 0x013A7D61
.long 0xD1196A04, 0x00010500
.long 0xD0C9004A, 0x00003104
.long 0xD0C9004E, 0x00003301
.long 0x86CE4E4A
.long 0xD1FE0043, 0x020A0902
.long 0xD1000043, 0x013A8761
.long 0xE0501000, 0x80054643
.long 0x924A02FF, 0x00000100
.long 0xD1350044, 0x00009504
.long 0x24888882
.long 0xD1000044, 0x013A8961
.long 0x248A0882
.long 0xD1FE0043, 0x020A0903
.long 0xD1000043, 0x013A8761
.long 0xD1196A04, 0x00010700
.long 0xD0C9004A, 0x00003104
.long 0xD0C9004E, 0x00003301
.long 0x86CE4E4A
.long 0xD1FE0048, 0x020A0902
.long 0xD1000048, 0x013A9161
.long 0xE0501000, 0x80054B48
.long 0x924A02FF, 0x00000100
.long 0xD1350049, 0x00009504
.long 0x24929282
.long 0xD1000049, 0x013A9361
.long 0x24940882
.long 0xD1FE0048, 0x020A0903
.long 0xD1000048, 0x013A9161
	;; [unrolled: 58-line block ×3, first 2 shown]
.long 0xD3D8400F, 0x18000190
.long 0xD3D84016, 0x18000194
	;; [unrolled: 1-line block ×16, first 2 shown]
.long 0xBF800001
.long 0x0A1E1E2C
	;; [unrolled: 1-line block ×18, first 2 shown]
.long 0xD0CC0034, 0x00010042
.long 0xD100000E, 0x00D21CF2
.long 0x0A1E1F0E
.long 0xD13B000F, 0x00005B0C
.long 0x02081F0D
.long 0xBEC81E3E
.long 0x7E1E0304
.long 0xE0701000, 0x80040F09
.long 0xD0CC0034, 0x00010042
.long 0xD1000015, 0x00D22AF2
.long 0x0A2C2D15
.long 0xD13B0016, 0x00005B13
.long 0x02082D14
.long 0xBEC81E3E
.long 0x7E2C0304
.long 0xE0701000, 0x80041610
	;; [unrolled: 8-line block ×16, first 2 shown]
.long 0xBF800000
.long 0x7EC202FF, 0x80000000
.long 0xD1196A01, 0x00011B01
.long 0x924A8D26
.long 0xD1340002, 0x00009502
.long 0x924A8D24
.long 0xD1340003, 0x00009503
.long 0xD0C9004A, 0x00003100
.long 0xD0C9004E, 0x00003301
.long 0x86CE4E4A
.long 0xD1FE0009, 0x020A0102
.long 0xD1000009, 0x013A1361
.long 0xE0501000, 0x80050C09
.long 0x924A02FF, 0x00000100
.long 0xD135000A, 0x00009500
.long 0x24141482
.long 0xD100000A, 0x013A1561
.long 0xD86C0000, 0x0D00000A
.long 0x24160082
.long 0xE0501000, 0x80100E0B
.long 0xD1FE0009, 0x020A0103
.long 0xD1000009, 0x013A1361
.long 0xD1196A04, 0x00010300
.long 0xD0C9004A, 0x00003104
.long 0xD0C9004E, 0x00003301
.long 0x86CE4E4A
.long 0xD1FE0010, 0x020A0902
.long 0xD1000010, 0x013A2161
.long 0xE0501000, 0x80051310
.long 0x924A02FF, 0x00000100
.long 0xD1350011, 0x00009504
.long 0x24222282
.long 0xD1000011, 0x013A2361
.long 0xD86C0000, 0x14000011
.long 0x24240882
.long 0xE0501000, 0x80101512
.long 0xD1FE0010, 0x020A0903
.long 0xD1000010, 0x013A2161
	;; [unrolled: 16-line block ×4, first 2 shown]
.long 0xD1196A01, 0x00010301
.long 0xD1340002, 0x00004D02
.long 0xD1340003, 0x00004903
.long 0xD0C9004A, 0x00003100
.long 0xD0C9004E, 0x00003301
.long 0x86CE4E4A
.long 0xD1FE0025, 0x020A0102
.long 0xD1000025, 0x013A4B61
.long 0xE0501000, 0x80052825
.long 0x924A02FF, 0x00000100
.long 0xD1350026, 0x00009500
.long 0x244C4C82
.long 0xD1000026, 0x013A4D61
.long 0x244E0082
.long 0xD1FE0025, 0x020A0103
.long 0xD1000025, 0x013A4B61
.long 0xD1196A04, 0x00010300
.long 0xD0C9004A, 0x00003104
.long 0xD0C9004E, 0x00003301
.long 0x86CE4E4A
.long 0xD1FE002A, 0x020A0902
.long 0xD100002A, 0x013A5561
.long 0xE0501000, 0x80052D2A
.long 0x924A02FF, 0x00000100
.long 0xD135002B, 0x00009504
.long 0x24565682
.long 0xD100002B, 0x013A5761
.long 0x24580882
.long 0xD1FE002A, 0x020A0903
.long 0xD100002A, 0x013A5561
.long 0xD1196A04, 0x00010500
.long 0xD0C9004A, 0x00003104
.long 0xD0C9004E, 0x00003301
.long 0x86CE4E4A
.long 0xD1FE002F, 0x020A0902
.long 0xD100002F, 0x013A5F61
.long 0xE0501000, 0x8005322F
.long 0x924A02FF, 0x00000100
.long 0xD1350030, 0x00009504
.long 0x24606082
.long 0xD1000030, 0x013A6161
.long 0x24620882
.long 0xD1FE002F, 0x020A0903
.long 0xD100002F, 0x013A5F61
.long 0xD1196A04, 0x00010700
.long 0xD0C9004A, 0x00003104
.long 0xD0C9004E, 0x00003301
.long 0x86CE4E4A
.long 0xD1FE0034, 0x020A0902
.long 0xD1000034, 0x013A6961
.long 0xE0501000, 0x80053734
.long 0x924A02FF, 0x00000100
.long 0xD1350035, 0x00009504
.long 0x246A6A82
.long 0xD1000035, 0x013A6B61
.long 0x246C0882
.long 0xD1FE0034, 0x020A0903
.long 0xD1000034, 0x013A6961
.long 0xD1196A01, 0x00010301
.long 0xD1340002, 0x00004D02
.long 0xD1340003, 0x00004903
.long 0xD0C9004A, 0x00003100
.long 0xD0C9004E, 0x00003301
.long 0x86CE4E4A
.long 0xD1FE0039, 0x020A0102
.long 0xD1000039, 0x013A7361
.long 0xE0501000, 0x80053C39
.long 0x924A02FF, 0x00000100
.long 0xD135003A, 0x00009500
.long 0x24747482
.long 0xD100003A, 0x013A7561
.long 0x24760082
.long 0xD1FE0039, 0x020A0103
.long 0xD1000039, 0x013A7361
.long 0xD1196A04, 0x00010300
.long 0xD0C9004A, 0x00003104
.long 0xD0C9004E, 0x00003301
.long 0x86CE4E4A
.long 0xD1FE003E, 0x020A0902
.long 0xD100003E, 0x013A7D61
.long 0xE0501000, 0x8005413E
.long 0x924A02FF, 0x00000100
.long 0xD135003F, 0x00009504
.long 0x247E7E82
.long 0xD100003F, 0x013A7F61
.long 0x24800882
.long 0xD1FE003E, 0x020A0903
.long 0xD100003E, 0x013A7D61
.long 0xD1196A04, 0x00010500
.long 0xD0C9004A, 0x00003104
.long 0xD0C9004E, 0x00003301
.long 0x86CE4E4A
.long 0xD1FE0043, 0x020A0902
.long 0xD1000043, 0x013A8761
.long 0xE0501000, 0x80054643
.long 0x924A02FF, 0x00000100
.long 0xD1350044, 0x00009504
.long 0x24888882
.long 0xD1000044, 0x013A8961
.long 0x248A0882
.long 0xD1FE0043, 0x020A0903
.long 0xD1000043, 0x013A8761
.long 0xD1196A04, 0x00010700
.long 0xD0C9004A, 0x00003104
.long 0xD0C9004E, 0x00003301
.long 0x86CE4E4A
.long 0xD1FE0048, 0x020A0902
.long 0xD1000048, 0x013A9161
.long 0xE0501000, 0x80054B48
.long 0x924A02FF, 0x00000100
.long 0xD1350049, 0x00009504
.long 0x24929282
.long 0xD1000049, 0x013A9361
.long 0x24940882
.long 0xD1FE0048, 0x020A0903
.long 0xD1000048, 0x013A9161
	;; [unrolled: 58-line block ×3, first 2 shown]
.long 0xD3D8400F, 0x180001A0
.long 0xD3D84016, 0x180001A4
	;; [unrolled: 1-line block ×16, first 2 shown]
.long 0xBF800001
.long 0x0A1E1E2C
	;; [unrolled: 1-line block ×18, first 2 shown]
.long 0xD0CC0034, 0x00010042
.long 0xD100000E, 0x00D21CF2
.long 0x0A1E1F0E
.long 0xD13B000F, 0x00005B0C
.long 0x02081F0D
.long 0xBEC81E3E
.long 0x7E1E0304
.long 0xE0701000, 0x80040F09
.long 0xD0CC0034, 0x00010042
.long 0xD1000015, 0x00D22AF2
.long 0x0A2C2D15
.long 0xD13B0016, 0x00005B13
.long 0x02082D14
.long 0xBEC81E3E
.long 0x7E2C0304
.long 0xE0701000, 0x80041610
	;; [unrolled: 8-line block ×16, first 2 shown]
.long 0xBF800000
.long 0x7EC202FF, 0x80000000
.long 0xD1196A01, 0x00011B01
.long 0x924A8D26
.long 0xD1340002, 0x00009502
.long 0x924A8D24
.long 0xD1340003, 0x00009503
.long 0xD0C9004A, 0x00003100
.long 0xD0C9004E, 0x00003301
.long 0x86CE4E4A
.long 0xD1FE0009, 0x020A0102
.long 0xD1000009, 0x013A1361
.long 0xE0501000, 0x80050C09
.long 0x924A02FF, 0x00000100
.long 0xD135000A, 0x00009500
.long 0x24141482
.long 0xD100000A, 0x013A1561
.long 0xD86C0000, 0x0D00000A
.long 0x24160082
.long 0xE0501000, 0x80100E0B
.long 0xD1FE0009, 0x020A0103
.long 0xD1000009, 0x013A1361
.long 0xD1196A04, 0x00010300
.long 0xD0C9004A, 0x00003104
.long 0xD0C9004E, 0x00003301
.long 0x86CE4E4A
.long 0xD1FE0010, 0x020A0902
.long 0xD1000010, 0x013A2161
.long 0xE0501000, 0x80051310
.long 0x924A02FF, 0x00000100
.long 0xD1350011, 0x00009504
.long 0x24222282
.long 0xD1000011, 0x013A2361
.long 0xD86C0000, 0x14000011
.long 0x24240882
.long 0xE0501000, 0x80101512
.long 0xD1FE0010, 0x020A0903
.long 0xD1000010, 0x013A2161
	;; [unrolled: 16-line block ×4, first 2 shown]
.long 0xD1196A01, 0x00010301
.long 0xD1340002, 0x00004D02
.long 0xD1340003, 0x00004903
.long 0xD0C9004A, 0x00003100
.long 0xD0C9004E, 0x00003301
.long 0x86CE4E4A
.long 0xD1FE0025, 0x020A0102
.long 0xD1000025, 0x013A4B61
.long 0xE0501000, 0x80052825
.long 0x924A02FF, 0x00000100
.long 0xD1350026, 0x00009500
.long 0x244C4C82
.long 0xD1000026, 0x013A4D61
.long 0x244E0082
.long 0xD1FE0025, 0x020A0103
.long 0xD1000025, 0x013A4B61
.long 0xD1196A04, 0x00010300
.long 0xD0C9004A, 0x00003104
.long 0xD0C9004E, 0x00003301
.long 0x86CE4E4A
.long 0xD1FE002A, 0x020A0902
.long 0xD100002A, 0x013A5561
.long 0xE0501000, 0x80052D2A
.long 0x924A02FF, 0x00000100
.long 0xD135002B, 0x00009504
.long 0x24565682
.long 0xD100002B, 0x013A5761
.long 0x24580882
.long 0xD1FE002A, 0x020A0903
.long 0xD100002A, 0x013A5561
.long 0xD1196A04, 0x00010500
.long 0xD0C9004A, 0x00003104
.long 0xD0C9004E, 0x00003301
.long 0x86CE4E4A
.long 0xD1FE002F, 0x020A0902
.long 0xD100002F, 0x013A5F61
.long 0xE0501000, 0x8005322F
.long 0x924A02FF, 0x00000100
.long 0xD1350030, 0x00009504
.long 0x24606082
.long 0xD1000030, 0x013A6161
.long 0x24620882
.long 0xD1FE002F, 0x020A0903
.long 0xD100002F, 0x013A5F61
.long 0xD1196A04, 0x00010700
.long 0xD0C9004A, 0x00003104
.long 0xD0C9004E, 0x00003301
.long 0x86CE4E4A
.long 0xD1FE0034, 0x020A0902
.long 0xD1000034, 0x013A6961
.long 0xE0501000, 0x80053734
.long 0x924A02FF, 0x00000100
.long 0xD1350035, 0x00009504
.long 0x246A6A82
.long 0xD1000035, 0x013A6B61
.long 0x246C0882
.long 0xD1FE0034, 0x020A0903
.long 0xD1000034, 0x013A6961
.long 0xD1196A01, 0x00010301
.long 0xD1340002, 0x00004D02
.long 0xD1340003, 0x00004903
.long 0xD0C9004A, 0x00003100
.long 0xD0C9004E, 0x00003301
.long 0x86CE4E4A
.long 0xD1FE0039, 0x020A0102
.long 0xD1000039, 0x013A7361
.long 0xE0501000, 0x80053C39
.long 0x924A02FF, 0x00000100
.long 0xD135003A, 0x00009500
.long 0x24747482
.long 0xD100003A, 0x013A7561
.long 0x24760082
.long 0xD1FE0039, 0x020A0103
.long 0xD1000039, 0x013A7361
.long 0xD1196A04, 0x00010300
.long 0xD0C9004A, 0x00003104
.long 0xD0C9004E, 0x00003301
.long 0x86CE4E4A
.long 0xD1FE003E, 0x020A0902
.long 0xD100003E, 0x013A7D61
.long 0xE0501000, 0x8005413E
.long 0x924A02FF, 0x00000100
.long 0xD135003F, 0x00009504
.long 0x247E7E82
.long 0xD100003F, 0x013A7F61
.long 0x24800882
.long 0xD1FE003E, 0x020A0903
.long 0xD100003E, 0x013A7D61
.long 0xD1196A04, 0x00010500
.long 0xD0C9004A, 0x00003104
.long 0xD0C9004E, 0x00003301
.long 0x86CE4E4A
.long 0xD1FE0043, 0x020A0902
.long 0xD1000043, 0x013A8761
.long 0xE0501000, 0x80054643
.long 0x924A02FF, 0x00000100
.long 0xD1350044, 0x00009504
.long 0x24888882
.long 0xD1000044, 0x013A8961
.long 0x248A0882
.long 0xD1FE0043, 0x020A0903
.long 0xD1000043, 0x013A8761
.long 0xD1196A04, 0x00010700
.long 0xD0C9004A, 0x00003104
.long 0xD0C9004E, 0x00003301
.long 0x86CE4E4A
.long 0xD1FE0048, 0x020A0902
.long 0xD1000048, 0x013A9161
.long 0xE0501000, 0x80054B48
.long 0x924A02FF, 0x00000100
.long 0xD1350049, 0x00009504
.long 0x24929282
.long 0xD1000049, 0x013A9361
.long 0x24940882
.long 0xD1FE0048, 0x020A0903
.long 0xD1000048, 0x013A9161
	;; [unrolled: 58-line block ×3, first 2 shown]
.long 0xD3D8400F, 0x180001B0
.long 0xD3D84016, 0x180001B4
	;; [unrolled: 1-line block ×16, first 2 shown]
.long 0xBF800001
.long 0x0A1E1E2C
	;; [unrolled: 1-line block ×18, first 2 shown]
.long 0xD0CC0034, 0x00010042
.long 0xD100000E, 0x00D21CF2
.long 0x0A1E1F0E
.long 0xD13B000F, 0x00005B0C
.long 0x02081F0D
.long 0xBEC81E3E
.long 0x7E1E0304
.long 0xE0701000, 0x80040F09
.long 0xD0CC0034, 0x00010042
.long 0xD1000015, 0x00D22AF2
.long 0x0A2C2D15
.long 0xD13B0016, 0x00005B13
.long 0x02082D14
.long 0xBEC81E3E
.long 0x7E2C0304
.long 0xE0701000, 0x80041610
	;; [unrolled: 8-line block ×16, first 2 shown]
.long 0xBF800000
.long 0x7EC202FF, 0x80000000
.long 0xD1196A01, 0x00011B01
.long 0x924A8D26
.long 0xD1340002, 0x00009502
.long 0x924A8D24
.long 0xD1340003, 0x00009503
.long 0xD0C9004A, 0x00003100
.long 0xD0C9004E, 0x00003301
.long 0x86CE4E4A
.long 0xD1FE0009, 0x020A0102
.long 0xD1000009, 0x013A1361
.long 0xE0501000, 0x80050C09
.long 0x924A02FF, 0x00000100
.long 0xD135000A, 0x00009500
.long 0x24141482
.long 0xD100000A, 0x013A1561
.long 0xD86C0000, 0x0D00000A
.long 0x24160082
.long 0xE0501000, 0x80100E0B
.long 0xD1FE0009, 0x020A0103
.long 0xD1000009, 0x013A1361
.long 0xD1196A04, 0x00010300
.long 0xD0C9004A, 0x00003104
.long 0xD0C9004E, 0x00003301
.long 0x86CE4E4A
.long 0xD1FE0010, 0x020A0902
.long 0xD1000010, 0x013A2161
.long 0xE0501000, 0x80051310
.long 0x924A02FF, 0x00000100
.long 0xD1350011, 0x00009504
.long 0x24222282
.long 0xD1000011, 0x013A2361
.long 0xD86C0000, 0x14000011
.long 0x24240882
.long 0xE0501000, 0x80101512
.long 0xD1FE0010, 0x020A0903
.long 0xD1000010, 0x013A2161
	;; [unrolled: 16-line block ×4, first 2 shown]
.long 0xD1196A01, 0x00010301
.long 0xD1340002, 0x00004D02
.long 0xD1340003, 0x00004903
.long 0xD0C9004A, 0x00003100
.long 0xD0C9004E, 0x00003301
.long 0x86CE4E4A
.long 0xD1FE0025, 0x020A0102
.long 0xD1000025, 0x013A4B61
.long 0xE0501000, 0x80052825
.long 0x924A02FF, 0x00000100
.long 0xD1350026, 0x00009500
.long 0x244C4C82
.long 0xD1000026, 0x013A4D61
.long 0x244E0082
.long 0xD1FE0025, 0x020A0103
.long 0xD1000025, 0x013A4B61
.long 0xD1196A04, 0x00010300
.long 0xD0C9004A, 0x00003104
.long 0xD0C9004E, 0x00003301
.long 0x86CE4E4A
.long 0xD1FE002A, 0x020A0902
.long 0xD100002A, 0x013A5561
.long 0xE0501000, 0x80052D2A
.long 0x924A02FF, 0x00000100
.long 0xD135002B, 0x00009504
.long 0x24565682
.long 0xD100002B, 0x013A5761
.long 0x24580882
.long 0xD1FE002A, 0x020A0903
.long 0xD100002A, 0x013A5561
.long 0xD1196A04, 0x00010500
.long 0xD0C9004A, 0x00003104
.long 0xD0C9004E, 0x00003301
.long 0x86CE4E4A
.long 0xD1FE002F, 0x020A0902
.long 0xD100002F, 0x013A5F61
.long 0xE0501000, 0x8005322F
.long 0x924A02FF, 0x00000100
.long 0xD1350030, 0x00009504
.long 0x24606082
.long 0xD1000030, 0x013A6161
.long 0x24620882
.long 0xD1FE002F, 0x020A0903
.long 0xD100002F, 0x013A5F61
.long 0xD1196A04, 0x00010700
.long 0xD0C9004A, 0x00003104
.long 0xD0C9004E, 0x00003301
.long 0x86CE4E4A
.long 0xD1FE0034, 0x020A0902
.long 0xD1000034, 0x013A6961
.long 0xE0501000, 0x80053734
.long 0x924A02FF, 0x00000100
.long 0xD1350035, 0x00009504
.long 0x246A6A82
.long 0xD1000035, 0x013A6B61
.long 0x246C0882
.long 0xD1FE0034, 0x020A0903
.long 0xD1000034, 0x013A6961
.long 0xD1196A01, 0x00010301
.long 0xD1340002, 0x00004D02
.long 0xD1340003, 0x00004903
.long 0xD0C9004A, 0x00003100
.long 0xD0C9004E, 0x00003301
.long 0x86CE4E4A
.long 0xD1FE0039, 0x020A0102
.long 0xD1000039, 0x013A7361
.long 0xE0501000, 0x80053C39
.long 0x924A02FF, 0x00000100
.long 0xD135003A, 0x00009500
.long 0x24747482
.long 0xD100003A, 0x013A7561
.long 0x24760082
.long 0xD1FE0039, 0x020A0103
.long 0xD1000039, 0x013A7361
.long 0xD1196A04, 0x00010300
.long 0xD0C9004A, 0x00003104
.long 0xD0C9004E, 0x00003301
.long 0x86CE4E4A
.long 0xD1FE003E, 0x020A0902
.long 0xD100003E, 0x013A7D61
.long 0xE0501000, 0x8005413E
.long 0x924A02FF, 0x00000100
.long 0xD135003F, 0x00009504
.long 0x247E7E82
.long 0xD100003F, 0x013A7F61
.long 0x24800882
.long 0xD1FE003E, 0x020A0903
.long 0xD100003E, 0x013A7D61
.long 0xD1196A04, 0x00010500
.long 0xD0C9004A, 0x00003104
.long 0xD0C9004E, 0x00003301
.long 0x86CE4E4A
.long 0xD1FE0043, 0x020A0902
.long 0xD1000043, 0x013A8761
.long 0xE0501000, 0x80054643
.long 0x924A02FF, 0x00000100
.long 0xD1350044, 0x00009504
.long 0x24888882
.long 0xD1000044, 0x013A8961
.long 0x248A0882
.long 0xD1FE0043, 0x020A0903
.long 0xD1000043, 0x013A8761
.long 0xD1196A04, 0x00010700
.long 0xD0C9004A, 0x00003104
.long 0xD0C9004E, 0x00003301
.long 0x86CE4E4A
.long 0xD1FE0048, 0x020A0902
.long 0xD1000048, 0x013A9161
.long 0xE0501000, 0x80054B48
.long 0x924A02FF, 0x00000100
.long 0xD1350049, 0x00009504
.long 0x24929282
.long 0xD1000049, 0x013A9361
.long 0x24940882
.long 0xD1FE0048, 0x020A0903
.long 0xD1000048, 0x013A9161
.long 0xD1196A01, 0x00010301
.long 0xD1340002, 0x00004D02
.long 0xD1340003, 0x00004903
.long 0xD0C9004A, 0x00003100
.long 0xD0C9004E, 0x00003301
.long 0x86CE4E4A
.long 0xD1FE004D, 0x020A0102
.long 0xD100004D, 0x013A9B61
.long 0xE0501000, 0x8005504D
.long 0x924A02FF, 0x00000100
.long 0xD135004E, 0x00009500
.long 0x249C9C82
.long 0xD100004E, 0x013A9D61
.long 0x249E0082
.long 0xD1FE004D, 0x020A0103
.long 0xD100004D, 0x013A9B61
.long 0xD1196A04, 0x00010300
.long 0xD0C9004A, 0x00003104
.long 0xD0C9004E, 0x00003301
.long 0x86CE4E4A
.long 0xD1FE0052, 0x020A0902
.long 0xD1000052, 0x013AA561
.long 0xE0501000, 0x80055552
.long 0x924A02FF, 0x00000100
.long 0xD1350053, 0x00009504
.long 0x24A6A682
.long 0xD1000053, 0x013AA761
.long 0x24A80882
.long 0xD1FE0052, 0x020A0903
.long 0xD1000052, 0x013AA561
.long 0xD1196A04, 0x00010500
.long 0xD0C9004A, 0x00003104
.long 0xD0C9004E, 0x00003301
.long 0x86CE4E4A
.long 0xD1FE0057, 0x020A0902
.long 0xD1000057, 0x013AAF61
.long 0xE0501000, 0x80055A57
.long 0x924A02FF, 0x00000100
.long 0xD1350058, 0x00009504
.long 0x24B0B082
.long 0xD1000058, 0x013AB161
.long 0x24B20882
.long 0xD1FE0057, 0x020A0903
.long 0xD1000057, 0x013AAF61
.long 0xD1196A04, 0x00010700
.long 0xD0C9004A, 0x00003104
.long 0xD0C9004E, 0x00003301
.long 0x86CE4E4A
.long 0xD1FE005C, 0x020A0902
.long 0xD100005C, 0x013AB961
.long 0xE0501000, 0x80055F5C
.long 0x924A02FF, 0x00000100
.long 0xD135005D, 0x00009504
.long 0x24BABA82
.long 0xD100005D, 0x013ABB61
.long 0x24BC0882
.long 0xD1FE005C, 0x020A0903
.long 0xD100005C, 0x013AB961
.long 0xD3D8400F, 0x180001C0
.long 0xD3D84016, 0x180001C4
.long 0xD3D8401D, 0x180001C8
.long 0xD3D84024, 0x180001CC
.long 0xD3D84029, 0x180001C1
.long 0xD3D8402E, 0x180001C5
.long 0xD3D84033, 0x180001C9
.long 0xD3D84038, 0x180001CD
.long 0xD3D8403D, 0x180001C2
.long 0xD3D84042, 0x180001C6
.long 0xD3D84047, 0x180001CA
.long 0xD3D8404C, 0x180001CE
.long 0xD3D84051, 0x180001C3
.long 0xD3D84056, 0x180001C7
.long 0xD3D8405B, 0x180001CB
.long 0xD3D84060, 0x180001CF
.long 0xBF800001
.long 0x0A1E1E2C
	;; [unrolled: 1-line block ×18, first 2 shown]
.long 0xD0CC0034, 0x00010042
.long 0xD100000E, 0x00D21CF2
.long 0x0A1E1F0E
.long 0xD13B000F, 0x00005B0C
.long 0x02081F0D
.long 0xBEC81E3E
.long 0x7E1E0304
.long 0xE0701000, 0x80040F09
.long 0xD0CC0034, 0x00010042
.long 0xD1000015, 0x00D22AF2
.long 0x0A2C2D15
.long 0xD13B0016, 0x00005B13
.long 0x02082D14
.long 0xBEC81E3E
.long 0x7E2C0304
.long 0xE0701000, 0x80041610
	;; [unrolled: 8-line block ×16, first 2 shown]
.long 0xBF800000
.long 0x7EC202FF, 0x80000000
.long 0xD1196A01, 0x00011B01
.long 0x924A8D26
.long 0xD1340002, 0x00009502
.long 0x924A8D24
.long 0xD1340003, 0x00009503
.long 0xD0C9004A, 0x00003100
.long 0xD0C9004E, 0x00003301
.long 0x86CE4E4A
.long 0xD1FE0009, 0x020A0102
.long 0xD1000009, 0x013A1361
.long 0xE0501000, 0x80050C09
.long 0x924A02FF, 0x00000100
.long 0xD135000A, 0x00009500
.long 0x24141482
.long 0xD100000A, 0x013A1561
.long 0xD86C0000, 0x0D00000A
.long 0x24160082
.long 0xE0501000, 0x80100E0B
.long 0xD1FE0009, 0x020A0103
.long 0xD1000009, 0x013A1361
.long 0xD1196A04, 0x00010300
.long 0xD0C9004A, 0x00003104
.long 0xD0C9004E, 0x00003301
.long 0x86CE4E4A
.long 0xD1FE0010, 0x020A0902
.long 0xD1000010, 0x013A2161
.long 0xE0501000, 0x80051310
.long 0x924A02FF, 0x00000100
.long 0xD1350011, 0x00009504
.long 0x24222282
.long 0xD1000011, 0x013A2361
.long 0xD86C0000, 0x14000011
.long 0x24240882
.long 0xE0501000, 0x80101512
.long 0xD1FE0010, 0x020A0903
.long 0xD1000010, 0x013A2161
	;; [unrolled: 16-line block ×4, first 2 shown]
.long 0xD1196A01, 0x00010301
.long 0xD1340002, 0x00004D02
.long 0xD1340003, 0x00004903
.long 0xD0C9004A, 0x00003100
.long 0xD0C9004E, 0x00003301
.long 0x86CE4E4A
.long 0xD1FE0025, 0x020A0102
.long 0xD1000025, 0x013A4B61
.long 0xE0501000, 0x80052825
.long 0x924A02FF, 0x00000100
.long 0xD1350026, 0x00009500
.long 0x244C4C82
.long 0xD1000026, 0x013A4D61
.long 0x244E0082
.long 0xD1FE0025, 0x020A0103
.long 0xD1000025, 0x013A4B61
.long 0xD1196A04, 0x00010300
.long 0xD0C9004A, 0x00003104
.long 0xD0C9004E, 0x00003301
.long 0x86CE4E4A
.long 0xD1FE002A, 0x020A0902
.long 0xD100002A, 0x013A5561
.long 0xE0501000, 0x80052D2A
.long 0x924A02FF, 0x00000100
.long 0xD135002B, 0x00009504
.long 0x24565682
.long 0xD100002B, 0x013A5761
.long 0x24580882
.long 0xD1FE002A, 0x020A0903
.long 0xD100002A, 0x013A5561
.long 0xD1196A04, 0x00010500
.long 0xD0C9004A, 0x00003104
.long 0xD0C9004E, 0x00003301
.long 0x86CE4E4A
.long 0xD1FE002F, 0x020A0902
.long 0xD100002F, 0x013A5F61
.long 0xE0501000, 0x8005322F
.long 0x924A02FF, 0x00000100
.long 0xD1350030, 0x00009504
.long 0x24606082
.long 0xD1000030, 0x013A6161
.long 0x24620882
.long 0xD1FE002F, 0x020A0903
.long 0xD100002F, 0x013A5F61
.long 0xD1196A04, 0x00010700
.long 0xD0C9004A, 0x00003104
.long 0xD0C9004E, 0x00003301
.long 0x86CE4E4A
.long 0xD1FE0034, 0x020A0902
.long 0xD1000034, 0x013A6961
.long 0xE0501000, 0x80053734
.long 0x924A02FF, 0x00000100
.long 0xD1350035, 0x00009504
.long 0x246A6A82
.long 0xD1000035, 0x013A6B61
.long 0x246C0882
.long 0xD1FE0034, 0x020A0903
.long 0xD1000034, 0x013A6961
.long 0xD1196A01, 0x00010301
.long 0xD1340002, 0x00004D02
.long 0xD1340003, 0x00004903
.long 0xD0C9004A, 0x00003100
.long 0xD0C9004E, 0x00003301
.long 0x86CE4E4A
.long 0xD1FE0039, 0x020A0102
.long 0xD1000039, 0x013A7361
.long 0xE0501000, 0x80053C39
.long 0x924A02FF, 0x00000100
.long 0xD135003A, 0x00009500
.long 0x24747482
.long 0xD100003A, 0x013A7561
.long 0x24760082
.long 0xD1FE0039, 0x020A0103
.long 0xD1000039, 0x013A7361
.long 0xD1196A04, 0x00010300
.long 0xD0C9004A, 0x00003104
.long 0xD0C9004E, 0x00003301
.long 0x86CE4E4A
.long 0xD1FE003E, 0x020A0902
.long 0xD100003E, 0x013A7D61
.long 0xE0501000, 0x8005413E
.long 0x924A02FF, 0x00000100
.long 0xD135003F, 0x00009504
.long 0x247E7E82
.long 0xD100003F, 0x013A7F61
.long 0x24800882
.long 0xD1FE003E, 0x020A0903
.long 0xD100003E, 0x013A7D61
.long 0xD1196A04, 0x00010500
.long 0xD0C9004A, 0x00003104
.long 0xD0C9004E, 0x00003301
.long 0x86CE4E4A
.long 0xD1FE0043, 0x020A0902
.long 0xD1000043, 0x013A8761
.long 0xE0501000, 0x80054643
.long 0x924A02FF, 0x00000100
.long 0xD1350044, 0x00009504
.long 0x24888882
.long 0xD1000044, 0x013A8961
.long 0x248A0882
.long 0xD1FE0043, 0x020A0903
.long 0xD1000043, 0x013A8761
.long 0xD1196A04, 0x00010700
.long 0xD0C9004A, 0x00003104
.long 0xD0C9004E, 0x00003301
.long 0x86CE4E4A
.long 0xD1FE0048, 0x020A0902
.long 0xD1000048, 0x013A9161
.long 0xE0501000, 0x80054B48
.long 0x924A02FF, 0x00000100
.long 0xD1350049, 0x00009504
.long 0x24929282
.long 0xD1000049, 0x013A9361
.long 0x24940882
.long 0xD1FE0048, 0x020A0903
.long 0xD1000048, 0x013A9161
	;; [unrolled: 58-line block ×3, first 2 shown]
.long 0xD3D8400F, 0x180001D0
.long 0xD3D84016, 0x180001D4
.long 0xD3D8401D, 0x180001D8
.long 0xD3D84024, 0x180001DC
.long 0xD3D84029, 0x180001D1
.long 0xD3D8402E, 0x180001D5
.long 0xD3D84033, 0x180001D9
.long 0xD3D84038, 0x180001DD
.long 0xD3D8403D, 0x180001D2
.long 0xD3D84042, 0x180001D6
.long 0xD3D84047, 0x180001DA
.long 0xD3D8404C, 0x180001DE
.long 0xD3D84051, 0x180001D3
.long 0xD3D84056, 0x180001D7
.long 0xD3D8405B, 0x180001DB
.long 0xD3D84060, 0x180001DF
.long 0xBF800001
.long 0x0A1E1E2C
	;; [unrolled: 1-line block ×18, first 2 shown]
.long 0xD0CC0034, 0x00010042
.long 0xD100000E, 0x00D21CF2
.long 0x0A1E1F0E
.long 0xD13B000F, 0x00005B0C
.long 0x02081F0D
.long 0xBEC81E3E
.long 0x7E1E0304
.long 0xE0701000, 0x80040F09
.long 0xD0CC0034, 0x00010042
.long 0xD1000015, 0x00D22AF2
.long 0x0A2C2D15
.long 0xD13B0016, 0x00005B13
.long 0x02082D14
.long 0xBEC81E3E
.long 0x7E2C0304
.long 0xE0701000, 0x80041610
	;; [unrolled: 8-line block ×16, first 2 shown]
.long 0xBF800000
.long 0x7EC202FF, 0x80000000
.long 0xD1196A01, 0x00011B01
.long 0x924A8D26
.long 0xD1340002, 0x00009502
.long 0x924A8D24
.long 0xD1340003, 0x00009503
.long 0xD0C9004A, 0x00003100
.long 0xD0C9004E, 0x00003301
.long 0x86CE4E4A
.long 0xD1FE0009, 0x020A0102
.long 0xD1000009, 0x013A1361
.long 0xE0501000, 0x80050C09
.long 0x924A02FF, 0x00000100
.long 0xD135000A, 0x00009500
.long 0x24141482
.long 0xD100000A, 0x013A1561
.long 0xD86C0000, 0x0D00000A
.long 0x24160082
.long 0xE0501000, 0x80100E0B
.long 0xD1FE0009, 0x020A0103
.long 0xD1000009, 0x013A1361
.long 0xD1196A04, 0x00010300
.long 0xD0C9004A, 0x00003104
.long 0xD0C9004E, 0x00003301
.long 0x86CE4E4A
.long 0xD1FE0010, 0x020A0902
.long 0xD1000010, 0x013A2161
.long 0xE0501000, 0x80051310
.long 0x924A02FF, 0x00000100
.long 0xD1350011, 0x00009504
.long 0x24222282
.long 0xD1000011, 0x013A2361
.long 0xD86C0000, 0x14000011
.long 0x24240882
.long 0xE0501000, 0x80101512
.long 0xD1FE0010, 0x020A0903
.long 0xD1000010, 0x013A2161
	;; [unrolled: 16-line block ×4, first 2 shown]
.long 0xD1196A01, 0x00010301
.long 0xD1340002, 0x00004D02
.long 0xD1340003, 0x00004903
.long 0xD0C9004A, 0x00003100
.long 0xD0C9004E, 0x00003301
.long 0x86CE4E4A
.long 0xD1FE0025, 0x020A0102
.long 0xD1000025, 0x013A4B61
.long 0xE0501000, 0x80052825
.long 0x924A02FF, 0x00000100
.long 0xD1350026, 0x00009500
.long 0x244C4C82
.long 0xD1000026, 0x013A4D61
.long 0x244E0082
.long 0xD1FE0025, 0x020A0103
.long 0xD1000025, 0x013A4B61
.long 0xD1196A04, 0x00010300
.long 0xD0C9004A, 0x00003104
.long 0xD0C9004E, 0x00003301
.long 0x86CE4E4A
.long 0xD1FE002A, 0x020A0902
.long 0xD100002A, 0x013A5561
.long 0xE0501000, 0x80052D2A
.long 0x924A02FF, 0x00000100
.long 0xD135002B, 0x00009504
.long 0x24565682
.long 0xD100002B, 0x013A5761
.long 0x24580882
.long 0xD1FE002A, 0x020A0903
.long 0xD100002A, 0x013A5561
.long 0xD1196A04, 0x00010500
.long 0xD0C9004A, 0x00003104
.long 0xD0C9004E, 0x00003301
.long 0x86CE4E4A
.long 0xD1FE002F, 0x020A0902
.long 0xD100002F, 0x013A5F61
.long 0xE0501000, 0x8005322F
.long 0x924A02FF, 0x00000100
.long 0xD1350030, 0x00009504
.long 0x24606082
.long 0xD1000030, 0x013A6161
.long 0x24620882
.long 0xD1FE002F, 0x020A0903
.long 0xD100002F, 0x013A5F61
.long 0xD1196A04, 0x00010700
.long 0xD0C9004A, 0x00003104
.long 0xD0C9004E, 0x00003301
.long 0x86CE4E4A
.long 0xD1FE0034, 0x020A0902
.long 0xD1000034, 0x013A6961
.long 0xE0501000, 0x80053734
.long 0x924A02FF, 0x00000100
.long 0xD1350035, 0x00009504
.long 0x246A6A82
.long 0xD1000035, 0x013A6B61
.long 0x246C0882
.long 0xD1FE0034, 0x020A0903
.long 0xD1000034, 0x013A6961
.long 0xD1196A01, 0x00010301
.long 0xD1340002, 0x00004D02
.long 0xD1340003, 0x00004903
.long 0xD0C9004A, 0x00003100
.long 0xD0C9004E, 0x00003301
.long 0x86CE4E4A
.long 0xD1FE0039, 0x020A0102
.long 0xD1000039, 0x013A7361
.long 0xE0501000, 0x80053C39
.long 0x924A02FF, 0x00000100
.long 0xD135003A, 0x00009500
.long 0x24747482
.long 0xD100003A, 0x013A7561
.long 0x24760082
.long 0xD1FE0039, 0x020A0103
.long 0xD1000039, 0x013A7361
.long 0xD1196A04, 0x00010300
.long 0xD0C9004A, 0x00003104
.long 0xD0C9004E, 0x00003301
.long 0x86CE4E4A
.long 0xD1FE003E, 0x020A0902
.long 0xD100003E, 0x013A7D61
.long 0xE0501000, 0x8005413E
.long 0x924A02FF, 0x00000100
.long 0xD135003F, 0x00009504
.long 0x247E7E82
.long 0xD100003F, 0x013A7F61
.long 0x24800882
.long 0xD1FE003E, 0x020A0903
.long 0xD100003E, 0x013A7D61
.long 0xD1196A04, 0x00010500
.long 0xD0C9004A, 0x00003104
.long 0xD0C9004E, 0x00003301
.long 0x86CE4E4A
.long 0xD1FE0043, 0x020A0902
.long 0xD1000043, 0x013A8761
.long 0xE0501000, 0x80054643
.long 0x924A02FF, 0x00000100
.long 0xD1350044, 0x00009504
.long 0x24888882
.long 0xD1000044, 0x013A8961
.long 0x248A0882
.long 0xD1FE0043, 0x020A0903
.long 0xD1000043, 0x013A8761
.long 0xD1196A04, 0x00010700
.long 0xD0C9004A, 0x00003104
.long 0xD0C9004E, 0x00003301
.long 0x86CE4E4A
.long 0xD1FE0048, 0x020A0902
.long 0xD1000048, 0x013A9161
.long 0xE0501000, 0x80054B48
.long 0x924A02FF, 0x00000100
.long 0xD1350049, 0x00009504
.long 0x24929282
.long 0xD1000049, 0x013A9361
.long 0x24940882
.long 0xD1FE0048, 0x020A0903
.long 0xD1000048, 0x013A9161
	;; [unrolled: 58-line block ×3, first 2 shown]
.long 0xD3D8400F, 0x180001E0
.long 0xD3D84016, 0x180001E4
	;; [unrolled: 1-line block ×16, first 2 shown]
.long 0xBF800001
.long 0x0A1E1E2C
.long 0x0A2C2C2C
.long 0x0A3A3A2C
.long 0x0A48482C
.long 0x0A52522C
.long 0x0A5C5C2C
.long 0x0A66662C
.long 0x0A70702C
.long 0x0A7A7A2C
.long 0x0A84842C
.long 0x0A8E8E2C
.long 0x0A98982C
.long 0x0AA2A22C
.long 0x0AACAC2C
.long 0x0AB6B62C
.long 0x0AC0C02C
.long 0xBF8C0000
.long 0xD0CC0034, 0x00010042
.long 0xD100000E, 0x00D21CF2
.long 0x0A1E1F0E
.long 0xD13B000F, 0x00005B0C
.long 0x02081F0D
.long 0xBEC81E3E
.long 0x7E1E0304
.long 0xE0701000, 0x80040F09
.long 0xD0CC0034, 0x00010042
.long 0xD1000015, 0x00D22AF2
.long 0x0A2C2D15
.long 0xD13B0016, 0x00005B13
.long 0x02082D14
.long 0xBEC81E3E
.long 0x7E2C0304
.long 0xE0701000, 0x80041610
	;; [unrolled: 8-line block ×16, first 2 shown]
.long 0xBF800000
.long 0x7EC202FF, 0x80000000
.long 0xD1196A01, 0x00011B01
.long 0x924A8D26
.long 0xD1340002, 0x00009502
.long 0x924A8D24
.long 0xD1340003, 0x00009503
.long 0xD0C9004A, 0x00003100
.long 0xD0C9004E, 0x00003301
.long 0x86CE4E4A
.long 0xD1FE0009, 0x020A0102
.long 0xD1000009, 0x013A1361
.long 0xE0501000, 0x80050C09
.long 0x924A02FF, 0x00000100
.long 0xD135000A, 0x00009500
.long 0x24141482
.long 0xD100000A, 0x013A1561
.long 0xD86C0000, 0x0D00000A
.long 0x24160082
.long 0xE0501000, 0x80100E0B
.long 0xD1FE0009, 0x020A0103
.long 0xD1000009, 0x013A1361
.long 0xD1196A04, 0x00010300
.long 0xD0C9004A, 0x00003104
.long 0xD0C9004E, 0x00003301
.long 0x86CE4E4A
.long 0xD1FE0010, 0x020A0902
.long 0xD1000010, 0x013A2161
.long 0xE0501000, 0x80051310
.long 0x924A02FF, 0x00000100
.long 0xD1350011, 0x00009504
.long 0x24222282
.long 0xD1000011, 0x013A2361
.long 0xD86C0000, 0x14000011
.long 0x24240882
.long 0xE0501000, 0x80101512
.long 0xD1FE0010, 0x020A0903
.long 0xD1000010, 0x013A2161
	;; [unrolled: 16-line block ×4, first 2 shown]
.long 0xD1196A01, 0x00010301
.long 0xD1340002, 0x00004D02
.long 0xD1340003, 0x00004903
.long 0xD0C9004A, 0x00003100
.long 0xD0C9004E, 0x00003301
.long 0x86CE4E4A
.long 0xD1FE0025, 0x020A0102
.long 0xD1000025, 0x013A4B61
.long 0xE0501000, 0x80052825
.long 0x924A02FF, 0x00000100
.long 0xD1350026, 0x00009500
.long 0x244C4C82
.long 0xD1000026, 0x013A4D61
.long 0x244E0082
.long 0xD1FE0025, 0x020A0103
.long 0xD1000025, 0x013A4B61
.long 0xD1196A04, 0x00010300
.long 0xD0C9004A, 0x00003104
.long 0xD0C9004E, 0x00003301
.long 0x86CE4E4A
.long 0xD1FE002A, 0x020A0902
.long 0xD100002A, 0x013A5561
.long 0xE0501000, 0x80052D2A
.long 0x924A02FF, 0x00000100
.long 0xD135002B, 0x00009504
.long 0x24565682
.long 0xD100002B, 0x013A5761
.long 0x24580882
.long 0xD1FE002A, 0x020A0903
.long 0xD100002A, 0x013A5561
.long 0xD1196A04, 0x00010500
.long 0xD0C9004A, 0x00003104
.long 0xD0C9004E, 0x00003301
.long 0x86CE4E4A
.long 0xD1FE002F, 0x020A0902
.long 0xD100002F, 0x013A5F61
.long 0xE0501000, 0x8005322F
.long 0x924A02FF, 0x00000100
.long 0xD1350030, 0x00009504
.long 0x24606082
.long 0xD1000030, 0x013A6161
.long 0x24620882
.long 0xD1FE002F, 0x020A0903
.long 0xD100002F, 0x013A5F61
.long 0xD1196A04, 0x00010700
.long 0xD0C9004A, 0x00003104
.long 0xD0C9004E, 0x00003301
.long 0x86CE4E4A
.long 0xD1FE0034, 0x020A0902
.long 0xD1000034, 0x013A6961
.long 0xE0501000, 0x80053734
.long 0x924A02FF, 0x00000100
.long 0xD1350035, 0x00009504
.long 0x246A6A82
.long 0xD1000035, 0x013A6B61
.long 0x246C0882
.long 0xD1FE0034, 0x020A0903
.long 0xD1000034, 0x013A6961
.long 0xD1196A01, 0x00010301
.long 0xD1340002, 0x00004D02
.long 0xD1340003, 0x00004903
.long 0xD0C9004A, 0x00003100
.long 0xD0C9004E, 0x00003301
.long 0x86CE4E4A
.long 0xD1FE0039, 0x020A0102
.long 0xD1000039, 0x013A7361
.long 0xE0501000, 0x80053C39
.long 0x924A02FF, 0x00000100
.long 0xD135003A, 0x00009500
.long 0x24747482
.long 0xD100003A, 0x013A7561
.long 0x24760082
.long 0xD1FE0039, 0x020A0103
.long 0xD1000039, 0x013A7361
.long 0xD1196A04, 0x00010300
.long 0xD0C9004A, 0x00003104
.long 0xD0C9004E, 0x00003301
.long 0x86CE4E4A
.long 0xD1FE003E, 0x020A0902
.long 0xD100003E, 0x013A7D61
.long 0xE0501000, 0x8005413E
.long 0x924A02FF, 0x00000100
.long 0xD135003F, 0x00009504
.long 0x247E7E82
.long 0xD100003F, 0x013A7F61
.long 0x24800882
.long 0xD1FE003E, 0x020A0903
.long 0xD100003E, 0x013A7D61
.long 0xD1196A04, 0x00010500
.long 0xD0C9004A, 0x00003104
.long 0xD0C9004E, 0x00003301
.long 0x86CE4E4A
.long 0xD1FE0043, 0x020A0902
.long 0xD1000043, 0x013A8761
.long 0xE0501000, 0x80054643
.long 0x924A02FF, 0x00000100
.long 0xD1350044, 0x00009504
.long 0x24888882
.long 0xD1000044, 0x013A8961
.long 0x248A0882
.long 0xD1FE0043, 0x020A0903
.long 0xD1000043, 0x013A8761
.long 0xD1196A04, 0x00010700
.long 0xD0C9004A, 0x00003104
.long 0xD0C9004E, 0x00003301
.long 0x86CE4E4A
.long 0xD1FE0048, 0x020A0902
.long 0xD1000048, 0x013A9161
.long 0xE0501000, 0x80054B48
.long 0x924A02FF, 0x00000100
.long 0xD1350049, 0x00009504
.long 0x24929282
.long 0xD1000049, 0x013A9361
.long 0x24940882
.long 0xD1FE0048, 0x020A0903
.long 0xD1000048, 0x013A9161
.long 0xD1196A01, 0x00010301
.long 0xD1340002, 0x00004D02
.long 0xD1340003, 0x00004903
.long 0xD0C9004A, 0x00003100
.long 0xD0C9004E, 0x00003301
.long 0x86CE4E4A
.long 0xD1FE004D, 0x020A0102
.long 0xD100004D, 0x013A9B61
.long 0xE0501000, 0x8005504D
.long 0x924A02FF, 0x00000100
.long 0xD135004E, 0x00009500
.long 0x249C9C82
.long 0xD100004E, 0x013A9D61
.long 0x249E0082
.long 0xD1FE004D, 0x020A0103
.long 0xD100004D, 0x013A9B61
.long 0xD1196A04, 0x00010300
.long 0xD0C9004A, 0x00003104
.long 0xD0C9004E, 0x00003301
.long 0x86CE4E4A
.long 0xD1FE0052, 0x020A0902
.long 0xD1000052, 0x013AA561
.long 0xE0501000, 0x80055552
.long 0x924A02FF, 0x00000100
.long 0xD1350053, 0x00009504
.long 0x24A6A682
.long 0xD1000053, 0x013AA761
.long 0x24A80882
.long 0xD1FE0052, 0x020A0903
.long 0xD1000052, 0x013AA561
.long 0xD1196A04, 0x00010500
.long 0xD0C9004A, 0x00003104
.long 0xD0C9004E, 0x00003301
.long 0x86CE4E4A
.long 0xD1FE0057, 0x020A0902
.long 0xD1000057, 0x013AAF61
.long 0xE0501000, 0x80055A57
.long 0x924A02FF, 0x00000100
.long 0xD1350058, 0x00009504
.long 0x24B0B082
.long 0xD1000058, 0x013AB161
.long 0x24B20882
.long 0xD1FE0057, 0x020A0903
.long 0xD1000057, 0x013AAF61
.long 0xD1196A04, 0x00010700
.long 0xD0C9004A, 0x00003104
.long 0xD0C9004E, 0x00003301
.long 0x86CE4E4A
.long 0xD1FE005C, 0x020A0902
.long 0xD100005C, 0x013AB961
.long 0xE0501000, 0x80055F5C
.long 0x924A02FF, 0x00000100
.long 0xD135005D, 0x00009504
.long 0x24BABA82
.long 0xD100005D, 0x013ABB61
.long 0x24BC0882
.long 0xD1FE005C, 0x020A0903
.long 0xD100005C, 0x013AB961
.long 0xD3D8400F, 0x180001F0
.long 0xD3D84016, 0x180001F4
	;; [unrolled: 1-line block ×16, first 2 shown]
.long 0xBF800001
.long 0x0A1E1E2C
	;; [unrolled: 1-line block ×18, first 2 shown]
.long 0xD0CC0034, 0x00010042
.long 0xD100000E, 0x00D21CF2
.long 0x0A1E1F0E
.long 0xD13B000F, 0x00005B0C
.long 0x02081F0D
.long 0xBEC81E3E
.long 0x7E1E0304
.long 0xE0701000, 0x80040F09
.long 0xD0CC0034, 0x00010042
.long 0xD1000015, 0x00D22AF2
.long 0x0A2C2D15
.long 0xD13B0016, 0x00005B13
.long 0x02082D14
.long 0xBEC81E3E
.long 0x7E2C0304
.long 0xE0701000, 0x80041610
	;; [unrolled: 8-line block ×16, first 2 shown]
.long 0xBF800000
.long 0xBF82014D
	;; [unrolled: 1-line block ×3, first 2 shown]
.long 0x260808FF, 0x7FFFFFFF
.long 0x260A0AFF, 0x7FFFFFFF
	;; [unrolled: 1-line block ×4, first 2 shown]
.long 0xBE801D48
.long 0xD044006A, 0x00007504
.long 0x1408083B
.long 0x00080880
.long 0xD044006A, 0x00007505
.long 0x140A0A3B
	;; [unrolled: 3-line block ×4, first 2 shown]
.long 0x000E0E80
.long 0xBE801D48
.long 0x0A1008FF, 0x3D372713
.long 0xD1CB0008, 0x03CA1104
.long 0x0A101104
.long 0x0A1010FF, 0x40135761
.long 0x7E104108
.long 0xBF800000
.long 0x021010F2
.long 0x7E104508
.long 0xBF800000
.long 0xD1CB0008, 0x03D210F5
.long 0x0A101104
.long 0x0A0810F0
.long 0x0A100AFF, 0x3D372713
.long 0xD1CB0008, 0x03CA1105
.long 0x0A101105
.long 0x0A1010FF, 0x40135761
.long 0x7E104108
.long 0xBF800000
.long 0x021010F2
.long 0x7E104508
.long 0xBF800000
.long 0xD1CB0008, 0x03D210F5
	;; [unrolled: 12-line block ×4, first 2 shown]
.long 0x0A101107
.long 0x0A0E10F0
	;; [unrolled: 1-line block ×4, first 2 shown]
.long 0xD046006A, 0x00010104
.long 0x00080908
.long 0x0A100A3A
.long 0xD046006A, 0x00010105
.long 0x000A0B08
.long 0x0A100C3A
	;; [unrolled: 3-line block ×4, first 2 shown]
.long 0xD10B0004, 0x00010104
.long 0xD10B0005, 0x00010105
	;; [unrolled: 1-line block ×4, first 2 shown]
.long 0xBE801D48
.long 0x0A0808FF, 0xBFB8AA3B
.long 0x7E084104
.long 0xBF800000
.long 0x020808F2
.long 0x7E084504
.long 0xBF800000
.long 0x0A0A0AFF, 0xBFB8AA3B
.long 0x7E0A4105
.long 0xBF800000
.long 0x020A0AF2
.long 0x7E0A4505
	;; [unrolled: 6-line block ×4, first 2 shown]
.long 0xBF800000
.long 0xBE801D48
.long 0x0A08083A
.long 0x0A0808FF, 0x4038AA3B
.long 0x7E084104
.long 0xBF800000
.long 0x020808F2
.long 0x7E084504
.long 0xBF800000
.long 0xD1CB0004, 0x03CA08F5
.long 0x0A08083B
.long 0x0A0A0A3A
.long 0x0A0A0AFF, 0x4038AA3B
.long 0x7E0A4105
.long 0xBF800000
.long 0x020A0AF2
.long 0x7E0A4505
.long 0xBF800000
.long 0xD1CB0005, 0x03CA0AF5
.long 0x0A0A0A3B
.long 0x0A0C0C3A
	;; [unrolled: 9-line block ×4, first 2 shown]
.long 0x0A1008FF, 0x3D372713
.long 0xD1CB0008, 0x03CA1104
.long 0x0A101104
.long 0x0A1010FF, 0x40135761
.long 0x7E104108
.long 0xBF800000
.long 0x021010F2
.long 0x7E104508
.long 0xBF800000
.long 0xD1CB0008, 0x03D210F5
.long 0x0A101104
.long 0x0A1010F0
.long 0x0A08103A
.long 0x0A100AFF, 0x3D372713
.long 0xD1CB0008, 0x03CA1105
.long 0x0A101105
.long 0x0A1010FF, 0x40135761
.long 0x7E104108
.long 0xBF800000
.long 0x021010F2
.long 0x7E104508
.long 0xBF800000
.long 0xD1CB0008, 0x03D210F5
.long 0x0A101105
.long 0x0A1010F0
.long 0x0A0A103A
	;; [unrolled: 13-line block ×4, first 2 shown]
.long 0xBE801D48
.long 0xBE801D48
.long 0x260808FF, 0x7FFFFFFF
.long 0xBE801D48
.long 0xD044006A, 0x00007504
.long 0x1408083B
.long 0x00080880
	;; [unrolled: 1-line block ×3, first 2 shown]
.long 0x0A1008FF, 0x3D372713
.long 0xD1CB0008, 0x03CA1104
.long 0x0A101104
.long 0x0A1010FF, 0x40135761
.long 0x7E104108
.long 0xBF800000
	;; [unrolled: 1-line block ×5, first 2 shown]
.long 0xD1CB0008, 0x03D210F5
.long 0x0A101104
.long 0x0A0810F0
	;; [unrolled: 1-line block ×4, first 2 shown]
.long 0xD046006A, 0x00010104
.long 0x00080908
.long 0xBE801D48
.long 0xD10B0004, 0x00010104
.long 0xBE801D48
.long 0x0A0808FF, 0xBFB8AA3B
.long 0x7E084104
.long 0xBF800000
	;; [unrolled: 1-line block ×7, first 2 shown]
.long 0x0A0808FF, 0x4038AA3B
.long 0x7E084104
.long 0xBF800000
	;; [unrolled: 1-line block ×5, first 2 shown]
.long 0xD1CB0004, 0x03CA08F5
.long 0x0A08083B
.long 0xBE801D48
.long 0x0A1008FF, 0x3D372713
.long 0xD1CB0008, 0x03CA1104
.long 0x0A101104
.long 0x0A1010FF, 0x40135761
.long 0x7E104108
.long 0xBF800000
	;; [unrolled: 1-line block ×5, first 2 shown]
.long 0xD1CB0008, 0x03D210F5
.long 0x0A101104
.long 0x0A1010F0
	;; [unrolled: 1-line block ×5, first 2 shown]
